;; amdgpu-corpus repo=ROCm/hipBLASLt kind=harvested arch=n/a opt=n/a

/******************************************/
/* Begin Kernel                           */
/******************************************/
.amdgcn_target "amdgcn-amd-amdhsa--gfx942"
.text
.protected CustomGSUs_Cijk_Ailk_Bljk_HSS_BH_Bias_AS_SAV_MT64x16x64_MI16x16x1_Freesize_2stage_gfx942
.globl CustomGSUs_Cijk_Ailk_Bljk_HSS_BH_Bias_AS_SAV_MT64x16x64_MI16x16x1_Freesize_2stage_gfx942
.p2align 8
.type CustomGSUs_Cijk_Ailk_Bljk_HSS_BH_Bias_AS_SAV_MT64x16x64_MI16x16x1_Freesize_2stage_gfx942,@function
.section .rodata,#alloc
.p2align 6
.amdhsa_kernel CustomGSUs_Cijk_Ailk_Bljk_HSS_BH_Bias_AS_SAV_MT64x16x64_MI16x16x1_Freesize_2stage_gfx942
  .amdhsa_user_sgpr_kernarg_segment_ptr 1
  .amdhsa_accum_offset 256 // accvgpr offset
  .amdhsa_next_free_vgpr 260 // vgprs
  .amdhsa_next_free_sgpr 89 // sgprs
  .amdhsa_group_segment_fixed_size 27392 // lds bytes
  .amdhsa_private_segment_fixed_size 0
  .amdhsa_system_sgpr_workgroup_id_x 1
  .amdhsa_system_sgpr_workgroup_id_y 1
  .amdhsa_system_sgpr_workgroup_id_z 1
  .amdhsa_system_vgpr_workitem_id 0
  .amdhsa_float_denorm_mode_32 3
  .amdhsa_float_denorm_mode_16_64 3
.end_amdhsa_kernel
.text
/* Num VGPR   =252 */
/* Num AccVGPR=4 */
/* Num SGPR   =89 */

/******************************************/
/* Optimizations and Config:              */
/******************************************/
/* ThreadTile= 4 x 1 */
/* SubGroup= 16 x 16 */
/* VectorWidthA=1 */
/* VectorWidthB=1 */
/* GlobalReadVectorWidthA=8, GlobalReadVectorWidthB=4 */
/* DirectToLdsA=False */
/* DirectToLdsB=False */
/* UseSgprForGRO=False */
.amdgpu_metadata
---
custom.config:
   InternalSupportParams:
      KernArgsVersion: 0
      SupportUserGSU: True
      SupportCustomWGM: True
      SupportCustomStaggerU: False
      UseUniversalArgs: False
amdhsa.version:
  - 1
  - 1
amdhsa.kernels:
  - .name: CustomGSUs_Cijk_Ailk_Bljk_HSS_BH_Bias_AS_SAV_MT64x16x64_MI16x16x1_Freesize_2stage_gfx942
    .symbol: 'CustomGSUs_Cijk_Ailk_Bljk_HSS_BH_Bias_AS_SAV_MT64x16x64_MI16x16x1_Freesize_2stage_gfx942.kd'
    .language:                   OpenCL C
    .language_version:
      - 2
      - 0
    .args:
      - .name:            SizesFree0
        .size:            4
        .offset:          0
        .value_kind:      by_value
        .value_type:      u32
      - .name:            SizesFree1
        .size:            4
        .offset:          4
        .value_kind:      by_value
        .value_type:      u32
      - .name:            SizesFree2
        .size:            4
        .offset:          8
        .value_kind:      by_value
        .value_type:      u32
      - .name:            SizesSum0
        .size:            4
        .offset:          12
        .value_kind:      by_value
        .value_type:      u32
      - .name:            D
        .size:            8
        .offset:          16
        .value_kind:      global_buffer
        .value_type:      f32
        .address_space:   generic
      - .name:            C
        .size:            8
        .offset:          24
        .value_kind:      global_buffer
        .value_type:      f32
        .address_space:   generic
      - .name:            A
        .size:            8
        .offset:          32
        .value_kind:      global_buffer
        .value_type:      f16
        .address_space:   generic
      - .name:            B
        .size:            8
        .offset:          40
        .value_kind:      global_buffer
        .value_type:      f16
        .address_space:   generic
      - .name:            strideD0
        .size:            4
        .offset:          48
        .value_kind:      by_value
        .value_type:      u32
      - .name:            strideD1
        .size:            4
        .offset:          52
        .value_kind:      by_value
        .value_type:      u32
      - .name:            strideC0
        .size:            4
        .offset:          56
        .value_kind:      by_value
        .value_type:      u32
      - .name:            strideC1
        .size:            4
        .offset:          60
        .value_kind:      by_value
        .value_type:      u32
      - .name:            strideA0
        .size:            4
        .offset:          64
        .value_kind:      by_value
        .value_type:      u32
      - .name:            strideA1
        .size:            4
        .offset:          68
        .value_kind:      by_value
        .value_type:      u32
      - .name:            strideB0
        .size:            4
        .offset:          72
        .value_kind:      by_value
        .value_type:      u32
      - .name:            strideB1
        .size:            4
        .offset:          76
        .value_kind:      by_value
        .value_type:      u32
      - .name:            alpha
        .size:            4
        .offset:          80
        .value_kind:      by_value
        .value_type:      f32
      - .name:            beta
        .size:            4
        .offset:          84
        .value_kind:      by_value
        .value_type:      f32
      - .name:            internalArgs
        .size:            4
        .offset:          88
        .value_kind:      by_value
        .value_type:      u32
      - .name:            AddressScaleAlphaVec
        .size:            8
        .offset:          92
        .value_kind:      global_buffer
        .value_type:      f32
        .address_space:   generic
      - .name:            bias
        .size:            8
        .offset:          100
        .value_kind:      global_buffer
        .value_type:      void
        .address_space:   generic
      - .name:            biasType
        .size:            4
        .offset:          108
        .value_kind:      by_value
        .value_type:      u32
      - .name:            StrideBias
        .size:            4
        .offset:          112
        .value_kind:      by_value
        .value_type:      u32
      - .name:            activationAlpha
        .size:            4
        .offset:          116
        .value_kind:      by_value
        .value_type:      f32
      - .name:            activationBeta
        .size:            4
        .offset:          120
        .value_kind:      by_value
        .value_type:      f32
      - .name:            activationType
        .size:            4
        .offset:          124
        .value_kind:      by_value
        .value_type:      u32
      - .name:            dstD
        .size:            8
        .offset:          128
        .value_kind:      global_buffer
        .value_type:      f32
        .address_space:   generic
      - .name:            Synchronizer
        .size:            8
        .offset:          136
        .value_kind:      global_buffer
        .value_type:      f32
        .address_space:   generic
      - .name:            GSUSync
        .size:            4
        .offset:          144
        .value_kind:      by_value
        .value_type:      u32
    .group_segment_fixed_size:   27392
    .kernarg_segment_align:      8
    .kernarg_segment_size:       152
    .max_flat_workgroup_size:    256
    .private_segment_fixed_size: 0
    .sgpr_count:                 89
    .sgpr_spill_count:           0
    .vgpr_count:                 252
    .vgpr_spill_count:           0
    .wavefront_size:             64
...
.end_amdgpu_metadata
CustomGSUs_Cijk_Ailk_Bljk_HSS_BH_Bias_AS_SAV_MT64x16x64_MI16x16x1_Freesize_2stage_gfx942:

.long 0xC0120700, 0x00000000
.long 0xC00A0B00, 0x00000040
	;; [unrolled: 1-line block ×5, first 2 shown]
.long 0x7E540300
.long 0x260254BF
	;; [unrolled: 1-line block ×20, first 2 shown]
.long 0xBEC700FF, 0x00001000
.long 0xD2850002, 0x00020447
	;; [unrolled: 1-line block ×3, first 2 shown]
.long 0x2006508A
.long 0x24060685
	;; [unrolled: 1-line block ×6, first 2 shown]
.long 0xD2850000, 0x00020047
.long 0xD1FE0029, 0x02060300
.long 0x20045287
.long 0x24040485
	;; [unrolled: 1-line block ×3, first 2 shown]
.long 0x325252FF, 0x00002100
.long 0x260854BF
.long 0x20020883
.long 0x26000887
.long 0x20085486
.long 0x7E0A0288
.long 0xD2850001, 0x00020305
.long 0x68020304
.long 0x24000083
	;; [unrolled: 1-line block ×13, first 2 shown]
.long 0xD1FE0018, 0x02063100
.long 0x200C308A
.long 0x240C0C85
	;; [unrolled: 1-line block ×4, first 2 shown]
.long 0xD1FE0019, 0x02063305
.long 0x200C3287
.long 0x240C0C85
	;; [unrolled: 1-line block ×3, first 2 shown]
.long 0x323232FF, 0x00002100
.long 0xBF8CC07F
.long 0x8609FF32, 0x0000FF00
.long 0x8F098809
	;; [unrolled: 2-line block ×4, first 2 shown]
.long 0x7E0E021C
.long 0x7E0C0D08
	;; [unrolled: 1-line block ×8, first 2 shown]
.long 0xD0CD006A, 0x00010109
.long 0xD11C6A06, 0x01A90106
.long 0x7E100290
.long 0x7E0E021D
	;; [unrolled: 1-line block ×10, first 2 shown]
.long 0xD0CD006A, 0x00010109
.long 0xD11C6A06, 0x01A90106
.long 0xBF800000
.long 0x7E2A0506
	;; [unrolled: 1-line block ×6, first 2 shown]
.long 0xD042006A, 0x00010030
.long 0xBF860001
.long 0xBE9F0080
	;; [unrolled: 1-line block ×9, first 2 shown]
.long 0xD1080007, 0x00006506
.long 0x6A0E0E03
.long 0xD0DA007E, 0x00006507
.long 0x680C0C81
.long 0x7E0E0280
	;; [unrolled: 1-line block ×18, first 2 shown]
.long 0xD1080007, 0x00001306
.long 0x6A0E0E03
.long 0xD0DA007E, 0x00001307
.long 0x680C0C81
.long 0xBEFE01C1
	;; [unrolled: 1-line block ×12, first 2 shown]
.long 0xD1080007, 0x00001306
.long 0x6A0E0E15
.long 0xD0DA007E, 0x00001307
.long 0x680C0C81
.long 0xBEFE01C1
	;; [unrolled: 1-line block ×14, first 2 shown]
.long 0xD1080007, 0x00009106
.long 0x6A0E0E4B
.long 0xD0DA007E, 0x00009107
.long 0x680C0C81
.long 0x7E0E0280
	;; [unrolled: 1-line block ×17, first 2 shown]
.long 0xD285000B, 0x0002102C
.long 0x32341706
.long 0x68343488
.long 0x24343481
.long 0xD285000B, 0x0002122C
.long 0x32361706
.long 0x68363688
.long 0x24363681
	;; [unrolled: 4-line block ×3, first 2 shown]
.long 0x964BC002
.long 0x924AC002
	;; [unrolled: 1-line block ×34, first 2 shown]
.long 0xBEB700FF, 0x00020000
.long 0x964B9003
.long 0x924A9003
	;; [unrolled: 1-line block ×34, first 2 shown]
.long 0xBEBB00FF, 0x00020000
.long 0x9247FF32, 0x00000080
.long 0x92452C47
.long 0x9247FF32, 0x00000080
.long 0xBEC60047
.long 0x8F0A861F
	;; [unrolled: 1-line block ×9, first 2 shown]
.long 0xD1080001, 0x00006500
.long 0x6A02020A
.long 0xD0DA007E, 0x00006501
.long 0x68000081
.long 0x7E020280
	;; [unrolled: 1-line block ×9, first 2 shown]
.long 0x864AFF33, 0x00001F00
.long 0x8F4A884A
.long 0x864BFF33, 0x0000E000
.long 0x8633FF33, 0x000000FF
.long 0xBEC80033
.long 0x8E494A48
	;; [unrolled: 1-line block ×13, first 2 shown]
.long 0xBF06FF4B, 0x00002000
.long 0xBF850002
.long 0xBEC80003
.long 0xBF820011
.long 0xBF06FF4B, 0x00004000
.long 0xBF850002
.long 0xBEC800C1
.long 0xBF82000C
	;; [unrolled: 4-line block ×3, first 2 shown]
.long 0x80480248
.long 0xBF820005
.long 0xBF06FF4B, 0x00008000
.long 0xBF850002
.long 0xBEC800C1
.long 0xBF820000
.long 0x86404840
.long 0x8E404A40
.long 0x96C94540
.long 0x92484540
.long 0x96C2450A
.long 0x9241450A
.long 0x80C14145
.long 0x82C24280
.long 0x80344834
.long 0x82354935
.long 0x80BC483C
.long 0x82BD493D
.long 0xBF06803D
.long 0x8536C13C
.long 0x96C94640
.long 0x92484640
.long 0x96C4460A
.long 0x9243460A
.long 0x80C34346
.long 0x82C44480
.long 0x80384838
.long 0x82394939
.long 0x80BE483E
.long 0x82BF493F
.long 0xBF06803F
.long 0x853AC13E
.long 0x80408240
.long 0xBF06800A
.long 0xBF85001A
.long 0xE05C1000, 0x800D1E1A
.long 0xE05C1000, 0x800D221B
	;; [unrolled: 1-line block ×3, first 2 shown]
.long 0x804A810A
.long 0xBF064A40
	;; [unrolled: 1-line block ×22, first 2 shown]
.long 0xBE8E00FF, 0x80000000
.long 0xBE8F00FF, 0x00020000
.long 0xBE900022
.long 0xBE910023
.long 0xBE9200FF, 0x80000000
.long 0xBE9300FF, 0x00020000
.long 0x924A0390
.long 0x96492A4A
	;; [unrolled: 1-line block ×42, first 2 shown]
.long 0xD3D94000, 0x18000080
.long 0xD3D94001, 0x18000080
.long 0xD3D94002, 0x18000080
.long 0xD3D94003, 0x18000080
.long 0xBF06800A
.long 0xBF840006
	;; [unrolled: 1-line block ×3, first 2 shown]
.long 0x814A84FF, 0x000009B0
.long 0x80484A48
.long 0x82498049
	;; [unrolled: 1-line block ×4, first 2 shown]
.long 0xD9BE0000, 0x00001E18
.long 0xD9BE0200, 0x00002218
	;; [unrolled: 1-line block ×5, first 2 shown]
.long 0xBF06810A
.long 0xBF850006
.long 0xE05C1000, 0x800D1E1A
.long 0xE05C1000, 0x800D221B
	;; [unrolled: 1-line block ×3, first 2 shown]
.long 0xBF8CC07F
.long 0xBF8A0000
.long 0xD8780000, 0x00000028
.long 0xD8B60080, 0x08000028
	;; [unrolled: 1-line block ×5, first 2 shown]
.long 0xBF06810A
.long 0xBF8500D5
	;; [unrolled: 1-line block ×4, first 2 shown]
.long 0xD8780200, 0x02000028
.long 0xD8B60280, 0x0A000028
.long 0xD8780300, 0x03000028
.long 0xD8B60380, 0x0B000028
.long 0xD9FE0040, 0x14000029
.long 0xBF06400A
.long 0x85484541
	;; [unrolled: 1-line block ×19, first 2 shown]
.long 0xD9BE0000, 0x00001E18
.long 0xE05C1000, 0x800D1E1A
.long 0xBF8C0F72
.long 0xD9BE0200, 0x00002218
.long 0xE05C1000, 0x800D221B
.long 0xBF8C0F72
.long 0xD89A0000, 0x00002619
.long 0xE0541000, 0x800E261C
	;; [unrolled: 1-line block ×4, first 2 shown]
.long 0xBF8CC87F
.long 0x28001100
	;; [unrolled: 1-line block ×5, first 2 shown]
.long 0xD3CD8000, 0x04022100
.long 0xD8781080, 0x04000028
	;; [unrolled: 1-line block ×5, first 2 shown]
.long 0xBF8CC77F
.long 0x28041502
	;; [unrolled: 1-line block ×5, first 2 shown]
.long 0xD3CD8000, 0x04022502
.long 0xD8781280, 0x06000028
	;; [unrolled: 1-line block ×7, first 2 shown]
.long 0xBF8CC47F
.long 0x28081904
	;; [unrolled: 1-line block ×5, first 2 shown]
.long 0xD3CD8000, 0x04022904
.long 0xBF8CC07F
.long 0xBF8A0000
.long 0xD8780000, 0x00000028
.long 0xD8B60080, 0x08000028
.long 0xD8780100, 0x01000028
.long 0xD8B60180, 0x09000028
.long 0xD9FE0000, 0x10000029
.long 0xBF8CC57F
.long 0x280C1D06
	;; [unrolled: 1-line block ×5, first 2 shown]
.long 0xD3CD8000, 0x04022D06
.long 0x808A810A
.long 0xBF00820A
.long 0xBF84FF92
.long 0xD8780200, 0x02000028
.long 0xD8B60280, 0x0A000028
	;; [unrolled: 1-line block ×5, first 2 shown]
.long 0xBF06400A
.long 0x85484541
	;; [unrolled: 1-line block ×19, first 2 shown]
.long 0xD9BE0000, 0x00001E18
.long 0xBF8C0F71
.long 0xD9BE0200, 0x00002218
.long 0xBF8C0F70
.long 0xD89A0000, 0x00002619
.long 0x2A3030FF, 0x00004000
	;; [unrolled: 1-line block ×3, first 2 shown]
.long 0xBF8CC87F
.long 0x28001100
	;; [unrolled: 1-line block ×5, first 2 shown]
.long 0xD3CD8000, 0x04022100
.long 0xD8781080, 0x04000028
	;; [unrolled: 1-line block ×5, first 2 shown]
.long 0xBF8CC77F
.long 0x28041502
.long 0x28061703
.long 0xBF800000
.long 0xBF800000
.long 0xD3CD8000, 0x04022502
.long 0xD8781280, 0x06000028
	;; [unrolled: 1-line block ×7, first 2 shown]
.long 0xBF8CC47F
.long 0x28081904
	;; [unrolled: 1-line block ×5, first 2 shown]
.long 0xD3CD8000, 0x04022904
.long 0xBF8CC07F
.long 0xBF8A0000
.long 0xD8780000, 0x00000028
.long 0xD8B60080, 0x08000028
	;; [unrolled: 1-line block ×5, first 2 shown]
.long 0xBF8CC57F
.long 0x280C1D06
	;; [unrolled: 1-line block ×5, first 2 shown]
.long 0xD3CD8000, 0x04022D06
.long 0xBF068132
.long 0xBF84013A
	;; [unrolled: 1-line block ×5, first 2 shown]
.long 0x814A84FF, 0x000004D8
.long 0x80484A48
.long 0x82498049
.long 0xBE801D48
.long 0xBF06F230
.long 0xBF850006
.long 0xBEC81C00
.long 0x814A84FF, 0x000004B8
.long 0x80484A48
.long 0x82498049
.long 0xBE801D48
.long 0x86481CBF
.long 0x804914C1
.long 0xBF094902
.long 0x85488048
.long 0xB5480000
.long 0xBF840006
.long 0xBEC81C00
.long 0x814A84FF, 0x00000488
.long 0x80484A48
.long 0x82498049
.long 0xBE801D48
.long 0x86481D8F
.long 0x804915C1
.long 0xBF094903
.long 0x85488048
.long 0xB5480000
.long 0xBF840006
.long 0xBEC81C00
.long 0x814A84FF, 0x00000458
.long 0x80484A48
.long 0x82498049
.long 0xBE801D48
.long 0x86491FBF
.long 0xBF068049
.long 0xBF850006
	;; [unrolled: 1-line block ×3, first 2 shown]
.long 0x814A84FF, 0x00000434
.long 0x80484A48
.long 0x82498049
.long 0xBE801D48
.long 0xD8780200, 0x02000028
.long 0xD8B60280, 0x0A000028
.long 0xD8780300, 0x03000028
.long 0xD8B60380, 0x0B000028
.long 0xD9FE0040, 0x14000029
.long 0xBF8CC57F
.long 0x28001100
.long 0x28021301
.long 0xBF800000
.long 0xBF800000
.long 0xD3CD8000, 0x04022100
.long 0xD8781080, 0x04000028
.long 0xD8B61100, 0x0C000028
.long 0xD8781180, 0x05000028
.long 0xD8B61200, 0x0D000028
.long 0xBF8CC47F
.long 0x28041502
	;; [unrolled: 10-line block ×3, first 2 shown]
.long 0x280A1B05
.long 0xBF800000
	;; [unrolled: 1-line block ×3, first 2 shown]
.long 0xD3CD8000, 0x04022904
.long 0xBF8CC07F
.long 0x280C1D06
	;; [unrolled: 1-line block ×5, first 2 shown]
.long 0xD3CD8000, 0x04022D06
.long 0xC00E0D00, 0x0000005C
	;; [unrolled: 1-line block ×4, first 2 shown]
.long 0x20085486
.long 0x20020882
.long 0xD2850001, 0x00020290
.long 0x260A548F
.long 0xD1FE0001, 0x02020305
.long 0xD2850002, 0x00005501
	;; [unrolled: 1-line block ×3, first 2 shown]
.long 0x260A0883
.long 0xD2850005, 0x00020A90
.long 0x260054BF
.long 0x20000084
	;; [unrolled: 1-line block ×3, first 2 shown]
.long 0xD1FE0000, 0x02020105
.long 0x923302C0
.long 0x68000033
	;; [unrolled: 1-line block ×7, first 2 shown]
.long 0xBEAF00FF, 0x00020000
.long 0xBF128034
.long 0xBF840002
	;; [unrolled: 1-line block ×12, first 2 shown]
.long 0xBEC300FF, 0x00020000
.long 0xBF128036
.long 0xBF840002
	;; [unrolled: 1-line block ×13, first 2 shown]
.long 0xE0501000, 0x80100408
.long 0x24105482
.long 0xBF8C0F70
	;; [unrolled: 1-line block ×3, first 2 shown]
.long 0xD81A0000, 0x00000408
.long 0xBF820011
.long 0xB4B80004
	;; [unrolled: 1-line block ×9, first 2 shown]
.long 0xE0901000, 0x80100408
.long 0x24105482
.long 0xBF8C0F70
	;; [unrolled: 1-line block ×4, first 2 shown]
.long 0xD81A0000, 0x00000408
.long 0xBF820000
.long 0xB43C0001
	;; [unrolled: 1-line block ×18, first 2 shown]
.long 0x813384FF, 0x0000EBA0
.long 0x803E333E
.long 0x823F803F
.long 0xBF820030
.long 0xBEBE1C00
.long 0x813384FF, 0x0000EB8C
.long 0x803E333E
.long 0x823F803F
.long 0xBF82002A
.long 0xBEBE1C00
	;; [unrolled: 5-line block ×9, first 2 shown]
.long 0xD135000B, 0x00009500
.long 0x24161682
.long 0xBF8CC07F
	;; [unrolled: 1-line block ×3, first 2 shown]
.long 0xD9FE0000, 0x1000000B
.long 0x24180082
.long 0xE05C1000, 0x800B140C
.long 0xD1FE0009, 0x020A0103
	;; [unrolled: 1-line block ×6, first 2 shown]
.long 0xBF800001
.long 0xBF800000
	;; [unrolled: 1-line block ×3, first 2 shown]
.long 0xD0CC0034, 0x0001002E
.long 0xD1000014, 0x00D228F2
	;; [unrolled: 1-line block ×10, first 2 shown]
.long 0xBEC81E3E
.long 0x7E300304
	;; [unrolled: 1-line block ×5, first 2 shown]
.long 0xE07CD000, 0x80031809
.long 0xBF800000
.long 0xBF800000
.long 0xBF820000
.long 0xBF810000
.long 0xD8780200, 0x02000028
.long 0xD8B60280, 0x0A000028
.long 0xD8780300, 0x03000028
.long 0xD8B60380, 0x0B000028
.long 0xD9FE0040, 0x14000029
.long 0xBF8CC57F
.long 0x28001100
.long 0x28021301
.long 0xBF800000
.long 0xBF800000
.long 0xD3CD8000, 0x04022100
.long 0xD8781080, 0x04000028
.long 0xD8B61100, 0x0C000028
.long 0xD8781180, 0x05000028
.long 0xD8B61200, 0x0D000028
.long 0xBF8CC47F
	;; [unrolled: 10-line block ×3, first 2 shown]
.long 0x28081904
.long 0x280A1B05
	;; [unrolled: 1-line block ×4, first 2 shown]
.long 0xD3CD8000, 0x04022904
.long 0xBF8CC07F
.long 0x280C1D06
	;; [unrolled: 1-line block ×5, first 2 shown]
.long 0xD3CD8000, 0x04022D06
.long 0x263030FF, 0x00F03FFF
	;; [unrolled: 1-line block ×3, first 2 shown]
.long 0x860A1FBF
.long 0xBF070706
	;; [unrolled: 1-line block ×28, first 2 shown]
.long 0xE0901000, 0x800D1E1A
.long 0xE0941002, 0x800D001A
.long 0xBF8C0F70
.long 0x283C011E
.long 0xE0901004, 0x800D1F1A
.long 0xE0941006, 0x800D001A
.long 0xBF8C0F70
.long 0x283E011F
	;; [unrolled: 4-line block ×10, first 2 shown]
.long 0xBF8C0F70
.long 0xBF8A0000
.long 0xD9BE0000, 0x00001E18
.long 0xD9BE0200, 0x00002218
	;; [unrolled: 1-line block ×3, first 2 shown]
.long 0x260254BF
.long 0x2600028F
.long 0x260254BF
.long 0x20020284
.long 0x24020288
.long 0x68000101
.long 0x20025486
.long 0x26020283
.long 0x24020284
.long 0x68000101
.long 0x260454BF
.long 0x2602048F
.long 0x24020286
.long 0x260454BF
.long 0x20040484
.long 0x24040482
.long 0x68020302
.long 0x20045486
.long 0x20040482
.long 0xBE8500FF, 0x00001000
.long 0xD2850002, 0x00020405
.long 0xD1FE0028, 0x02060102
.long 0x2006508A
.long 0x24060685
	;; [unrolled: 1-line block ×6, first 2 shown]
.long 0xD2850000, 0x00020005
.long 0xD1FE0029, 0x02060300
.long 0x20045287
.long 0x24040485
	;; [unrolled: 1-line block ×3, first 2 shown]
.long 0x325252FF, 0x00002100
.long 0xBF8CC07F
.long 0xBF8A0000
.long 0x265050FF, 0x00003FFF
.long 0x265252FF, 0x00003FFF
.long 0xD8780000, 0x00000028
.long 0xD8B60080, 0x08000028
.long 0xD8780100, 0x01000028
.long 0xD8B60180, 0x09000028
.long 0xD8EC0000, 0x10000029
.long 0xBE8500FF, 0x00000840
.long 0x32505005
.long 0xBE8500A0
.long 0x32525205
.long 0xBF8CC07F
.long 0x28001100
.long 0x28021301
.long 0x263054BF
.long 0x20303084
.long 0x24303082
.long 0xD0C60048, 0x00001518
.long 0xD1000000, 0x01210100
	;; [unrolled: 1-line block ×5, first 2 shown]
.long 0x6A30300A
.long 0xD0C10048, 0x00010918
.long 0x8647830A
.long 0x80C74784
	;; [unrolled: 1-line block ×3, first 2 shown]
.long 0xD28F001A, 0x00020047
.long 0xD1000000, 0x01223500
	;; [unrolled: 1-line block ×6, first 2 shown]
.long 0xBF800001
.long 0xD3CD8000, 0x04022100
.long 0x818A900A
.long 0x800B900B
	;; [unrolled: 1-line block ×5, first 2 shown]
.long 0xC00E0D00, 0x0000005C
.long 0xC0020F00, 0x0000007C
	;; [unrolled: 1-line block ×3, first 2 shown]
.long 0x7E060202
.long 0x0C0606FF, 0xFFFFFFC0
.long 0x3206061C
.long 0x7E0802C0
.long 0xD0C9003E, 0x00020903
.long 0xD1000003, 0x00FA0704
.long 0x200A5486
.long 0x260A0A83
	;; [unrolled: 1-line block ×4, first 2 shown]
.long 0xD0CA003E, 0x00020B06
.long 0xD1000003, 0x00FA0704
.long 0x20080684
.long 0x240C0A80
	;; [unrolled: 1-line block ×14, first 2 shown]
.long 0xD0CA006A, 0x00010307
.long 0xBF870013
.long 0xD0CA006A, 0x00010507
.long 0xBF870013
	;; [unrolled: 2-line block ×7, first 2 shown]
.long 0xBF8200E8
.long 0xD0CA006A, 0x00010104
.long 0xBF870012
.long 0xD0CA006A, 0x00010104
	;; [unrolled: 2-line block ×14, first 2 shown]
.long 0xBF8700A2
.long 0xBEBE0080
.long 0xD0DA003E, 0x00007D06
.long 0x260054BF
.long 0x24000082
.long 0xD3D84007, 0x18000103
.long 0xBF800001
.long 0xD87E0040, 0x07000700
.long 0xBF8C0000
.long 0xD3D94000, 0x18000107
.long 0xBEBE01C1
.long 0xBEEA213E
	;; [unrolled: 1-line block ×4, first 2 shown]
.long 0xD0DA003E, 0x00007D06
.long 0x260054BF
.long 0x24000082
.long 0xD3D84007, 0x18000102
.long 0xD3D84008, 0x18000103
.long 0xBF800001
.long 0xD87E0040, 0x07000700
.long 0xD87E0040, 0x08000800
	;; [unrolled: 3-line block ×3, first 2 shown]
.long 0xBEBE01C1
.long 0xBEEA213E
	;; [unrolled: 1-line block ×4, first 2 shown]
.long 0xD0DA003E, 0x00007D06
.long 0x260054BF
.long 0x24000082
.long 0xD3D84007, 0x18000101
.long 0xD3D84008, 0x18000102
.long 0xD3D84009, 0x18000103
.long 0xBF800001
.long 0xD87E0040, 0x07000700
.long 0xD87E0040, 0x08000800
.long 0xD87E0040, 0x09000900
	;; [unrolled: 4-line block ×3, first 2 shown]
.long 0xBEBE01C1
.long 0xBEEA213E
	;; [unrolled: 1-line block ×4, first 2 shown]
.long 0xD0DA003E, 0x00007D06
.long 0x260054BF
.long 0x24000082
.long 0xD3D84007, 0x18000100
.long 0xD3D84008, 0x18000101
.long 0xD3D84009, 0x18000102
.long 0xD3D8400A, 0x18000103
.long 0xBF800001
.long 0xD87E0040, 0x07000700
.long 0xD87E0040, 0x08000800
.long 0xD87E0040, 0x09000900
.long 0xD87E0040, 0x0A000A00
	;; [unrolled: 5-line block ×3, first 2 shown]
.long 0xBEBE01C1
.long 0xBEEA213E
	;; [unrolled: 1-line block ×4, first 2 shown]
.long 0xD0DA003E, 0x00007D06
.long 0x260054BF
.long 0x24000082
.long 0xD3D84007, 0x18000103
.long 0xD3D84008, 0x18000100
	;; [unrolled: 1-line block ×4, first 2 shown]
.long 0xBF800001
.long 0xD87E0040, 0x08000800
.long 0xD87E0040, 0x09000900
	;; [unrolled: 1-line block ×3, first 2 shown]
.long 0xBF8C0000
.long 0xD3D94000, 0x18000107
.long 0xD3D94001, 0x18000108
	;; [unrolled: 1-line block ×4, first 2 shown]
.long 0xBEBE01C1
.long 0xBEEA213E
	;; [unrolled: 1-line block ×4, first 2 shown]
.long 0xD0DA003E, 0x00007D06
.long 0x260054BF
.long 0x24000082
.long 0xD3D84007, 0x18000102
.long 0xD3D84008, 0x18000103
	;; [unrolled: 1-line block ×4, first 2 shown]
.long 0xBF800001
.long 0xD87E0040, 0x09000900
.long 0xD87E0040, 0x0A000A00
.long 0xBF8C0000
.long 0xD3D94000, 0x18000107
.long 0xD3D94001, 0x18000108
.long 0xD3D94002, 0x18000109
.long 0xD3D94003, 0x1800010A
.long 0xBEBE01C1
.long 0xBEEA213E
	;; [unrolled: 1-line block ×4, first 2 shown]
.long 0xD0DA003E, 0x00007D06
.long 0x260054BF
.long 0x24000082
.long 0xD3D84007, 0x18000101
.long 0xD3D84008, 0x18000102
.long 0xD3D84009, 0x18000103
.long 0xD3D8400A, 0x18000100
.long 0xBF800001
.long 0xD87E0040, 0x0A000A00
.long 0xBF8C0000
.long 0xD3D94000, 0x18000107
.long 0xD3D94001, 0x18000108
	;; [unrolled: 1-line block ×4, first 2 shown]
.long 0xBEBE01C1
.long 0xBEEA213E
	;; [unrolled: 1-line block ×5, first 2 shown]
.long 0xD2850001, 0x00020290
.long 0x260A548F
.long 0xD1FE0001, 0x02020305
.long 0xD2850002, 0x00005501
	;; [unrolled: 1-line block ×3, first 2 shown]
.long 0x260A0883
.long 0xD2850005, 0x00020A90
.long 0x260054BF
.long 0x20000084
.long 0x24000082
.long 0xD1FE0000, 0x02020105
.long 0x923302C0
.long 0x68000033
.long 0x92330390
.long 0x68020233
.long 0xBF8CC07F
.long 0xBF068132
.long 0xBF840006
.long 0xBEC81C00
.long 0x814A84FF, 0x0000D410
.long 0x80484A48
.long 0x82498049
.long 0xBE801D48
.long 0xBEAC0034
.long 0xBEAD0035
.long 0xBEAF00FF, 0x00020000
.long 0xBF128034
.long 0xBF840002
	;; [unrolled: 1-line block ×6, first 2 shown]
.long 0xBEC700FF, 0x00020000
.long 0xBEC600FF, 0x80000000
.long 0x92330390
.long 0x96492A33
	;; [unrolled: 1-line block ×17, first 2 shown]
.long 0xBEC300FF, 0x00020000
.long 0xBF128036
.long 0xBF840002
	;; [unrolled: 1-line block ×13, first 2 shown]
.long 0xE0501000, 0x80100408
.long 0x24105482
.long 0xBF8C0F70
	;; [unrolled: 1-line block ×3, first 2 shown]
.long 0xD81A0000, 0x00000408
.long 0xBF820011
.long 0xB4B80004
	;; [unrolled: 1-line block ×9, first 2 shown]
.long 0xE0901000, 0x80100408
.long 0x24105482
.long 0xBF8C0F70
	;; [unrolled: 1-line block ×4, first 2 shown]
.long 0xD81A0000, 0x00000408
.long 0xBF820000
.long 0xB4310000
	;; [unrolled: 1-line block ×32, first 2 shown]
.long 0x813384FF, 0x0000DF48
.long 0x803E333E
.long 0x823F803F
.long 0xBF820030
.long 0xBEBE1C00
.long 0x813384FF, 0x0000DF34
.long 0x803E333E
.long 0x823F803F
.long 0xBF82002A
.long 0xBEBE1C00
	;; [unrolled: 5-line block ×8, first 2 shown]
.long 0x813384FF, 0x0000E188
.long 0x803E333E
.long 0x823F803F
.long 0xBF820000
.long 0xD1FE0009, 0x020A0103
.long 0xD1FE000A, 0x020A0103
	;; [unrolled: 1-line block ×6, first 2 shown]
.long 0xBF800001
.long 0xE07CD000, 0x80031809
.long 0xBF800000
.long 0xBE890032
	;; [unrolled: 1-line block ×25, first 2 shown]
.long 0xC2330CCC, 0x00000000
.long 0x964D811C
.long 0x924C811C
	;; [unrolled: 1-line block ×24, first 2 shown]
.long 0x7E1C02FF, 0x80000000
.long 0xBECC0016
.long 0xBECD0017
	;; [unrolled: 1-line block ×11, first 2 shown]
.long 0xD2850001, 0x00020290
.long 0x260A54BF
.long 0x200A0A82
	;; [unrolled: 1-line block ×3, first 2 shown]
.long 0xD2850002, 0x00005501
.long 0xD2850003, 0x00005101
.long 0x260A0883
.long 0xD2850005, 0x00020A90
.long 0x26005483
.long 0x24000082
	;; [unrolled: 1-line block ×7, first 2 shown]
.long 0xD1FE0009, 0x020A0103
.long 0xD1FE000A, 0x020A0103
.long 0x924A02C0
.long 0xD135000C, 0x00009500
.long 0x24181882
.long 0xBF8CC07F
	;; [unrolled: 1-line block ×3, first 2 shown]
.long 0xD9FE0000, 0x1000000C
.long 0x241A0082
.long 0xE05C1000, 0x800B140D
.long 0xE05CD000, 0x80131809
.long 0xBE850032
.long 0x81858105
	;; [unrolled: 1-line block ×6, first 2 shown]
.long 0xE05CD000, 0x80132C09
.long 0x81858105
.long 0x804C504C
.long 0x824D514D
.long 0xBF008005
.long 0xBF850364
.long 0xE05CD000, 0x80133009
.long 0x81858105
.long 0x804C504C
.long 0x824D514D
.long 0xBF008005
.long 0xBF850352
.long 0xE05CD000, 0x80133409
.long 0x81858105
.long 0x804C504C
.long 0x824D514D
.long 0xBF008005
.long 0xBF85033B
.long 0xE05CD000, 0x80133809
.long 0x81858105
.long 0x804C504C
.long 0x824D514D
.long 0xBF008005
.long 0xBF85031F
.long 0xE05CD000, 0x80133C09
.long 0x81858105
.long 0x804C504C
.long 0x824D514D
.long 0xBF008005
.long 0xBF8502FE
.long 0xE05CD000, 0x80134009
.long 0x81858105
.long 0x804C504C
.long 0x824D514D
.long 0xBF008005
.long 0xBF8502D8
.long 0xE05CD000, 0x80134409
.long 0x81858105
.long 0x804C504C
.long 0x824D514D
.long 0xBF008005
.long 0xBF8502AD
.long 0xE05CD000, 0x80134809
.long 0x81858105
.long 0x804C504C
.long 0x824D514D
.long 0xBF008005
.long 0xBF85027D
.long 0xE05CD000, 0x80134C09
.long 0x81858105
.long 0x804C504C
.long 0x824D514D
.long 0xBF008005
.long 0xBF850248
.long 0xE05CD000, 0x80135009
.long 0x81858105
.long 0x804C504C
.long 0x824D514D
.long 0xBF008005
.long 0xBF85020E
.long 0xE05CD000, 0x80135409
.long 0x81858105
.long 0x804C504C
.long 0x824D514D
.long 0xBF008005
.long 0xBF8501CF
.long 0xE05CD000, 0x80135809
.long 0x81858105
.long 0x804C504C
.long 0x824D514D
.long 0xBF008005
.long 0xBF85018B
.long 0xE05CD000, 0x80135C09
.long 0x81858105
.long 0x804C504C
.long 0x824D514D
.long 0xBF008005
.long 0xBF850142
.long 0xE05CD000, 0x80136009
.long 0x81858105
.long 0x804C504C
.long 0x824D514D
.long 0xBF008005
.long 0xBF8500F4
.long 0xE05CD000, 0x80136409
.long 0xBF8C0F7E
.long 0xD3B24018, 0x18025918
.long 0xD3B2401A, 0x18025D1A
.long 0x81858105
.long 0xBF05CE05
.long 0xBF850305
.long 0x804C504C
.long 0x824D514D
.long 0xD0C60052, 0x00000A80
.long 0xD100000F, 0x014A1D09
.long 0xE05CD000, 0x80132C0F
.long 0xBF8C0F7E
.long 0xD3B24018, 0x18026118
.long 0xD3B2401A, 0x1802651A
.long 0x81858105
.long 0xBF05CE05
.long 0xBF8502F5
.long 0x804C504C
.long 0x824D514D
.long 0xD0C60052, 0x00000A80
.long 0xD100000F, 0x014A1D09
.long 0xE05CD000, 0x8013300F
.long 0xBF8C0F7E
.long 0xD3B24018, 0x18026918
.long 0xD3B2401A, 0x18026D1A
.long 0x81858105
.long 0xBF05CE05
.long 0xBF8502E5
.long 0x804C504C
.long 0x824D514D
.long 0xD0C60052, 0x00000A80
.long 0xD100000F, 0x014A1D09
.long 0xE05CD000, 0x8013340F
.long 0xBF8C0F7E
.long 0xD3B24018, 0x18027118
.long 0xD3B2401A, 0x1802751A
.long 0x81858105
.long 0xBF05CE05
.long 0xBF8502D5
.long 0x804C504C
.long 0x824D514D
.long 0xD0C60052, 0x00000A80
.long 0xD100000F, 0x014A1D09
.long 0xE05CD000, 0x8013380F
.long 0xBF8C0F7E
.long 0xD3B24018, 0x18027918
.long 0xD3B2401A, 0x18027D1A
.long 0x81858105
.long 0xBF05CE05
.long 0xBF8502C5
.long 0x804C504C
.long 0x824D514D
.long 0xD0C60052, 0x00000A80
.long 0xD100000F, 0x014A1D09
.long 0xE05CD000, 0x80133C0F
.long 0xBF8C0F7E
.long 0xD3B24018, 0x18028118
.long 0xD3B2401A, 0x1802851A
.long 0x81858105
.long 0xBF05CE05
.long 0xBF8502B5
.long 0x804C504C
.long 0x824D514D
.long 0xD0C60052, 0x00000A80
.long 0xD100000F, 0x014A1D09
.long 0xE05CD000, 0x8013400F
.long 0xBF8C0F7E
.long 0xD3B24018, 0x18028918
.long 0xD3B2401A, 0x18028D1A
.long 0x81858105
.long 0xBF05CE05
.long 0xBF8502A5
.long 0x804C504C
.long 0x824D514D
.long 0xD0C60052, 0x00000A80
.long 0xD100000F, 0x014A1D09
.long 0xE05CD000, 0x8013440F
.long 0xBF8C0F7E
.long 0xD3B24018, 0x18029118
.long 0xD3B2401A, 0x1802951A
.long 0x81858105
.long 0xBF05CE05
.long 0xBF850295
.long 0x804C504C
.long 0x824D514D
.long 0xD0C60052, 0x00000A80
.long 0xD100000F, 0x014A1D09
.long 0xE05CD000, 0x8013480F
.long 0xBF8C0F7E
.long 0xD3B24018, 0x18029918
.long 0xD3B2401A, 0x18029D1A
.long 0x81858105
.long 0xBF05CE05
.long 0xBF850285
.long 0x804C504C
.long 0x824D514D
.long 0xD0C60052, 0x00000A80
.long 0xD100000F, 0x014A1D09
.long 0xE05CD000, 0x80134C0F
.long 0xBF8C0F7E
.long 0xD3B24018, 0x1802A118
.long 0xD3B2401A, 0x1802A51A
.long 0x81858105
.long 0xBF05CE05
.long 0xBF850275
.long 0x804C504C
.long 0x824D514D
.long 0xD0C60052, 0x00000A80
.long 0xD100000F, 0x014A1D09
.long 0xE05CD000, 0x8013500F
.long 0xBF8C0F7E
.long 0xD3B24018, 0x1802A918
.long 0xD3B2401A, 0x1802AD1A
.long 0x81858105
.long 0xBF05CE05
.long 0xBF850265
.long 0x804C504C
.long 0x824D514D
.long 0xD0C60052, 0x00000A80
.long 0xD100000F, 0x014A1D09
.long 0xE05CD000, 0x8013540F
.long 0xBF8C0F7E
.long 0xD3B24018, 0x1802B118
.long 0xD3B2401A, 0x1802B51A
.long 0x81858105
.long 0xBF05CE05
.long 0xBF850255
.long 0x804C504C
.long 0x824D514D
.long 0xD0C60052, 0x00000A80
.long 0xD100000F, 0x014A1D09
.long 0xE05CD000, 0x8013580F
.long 0xBF8C0F7E
.long 0xD3B24018, 0x1802B918
.long 0xD3B2401A, 0x1802BD1A
.long 0x81858105
.long 0xBF05CE05
.long 0xBF850245
.long 0x804C504C
.long 0x824D514D
.long 0xD0C60052, 0x00000A80
.long 0xD100000F, 0x014A1D09
.long 0xE05CD000, 0x80135C0F
.long 0xBF8C0F7E
.long 0xD3B24018, 0x1802C118
.long 0xD3B2401A, 0x1802C51A
.long 0x81858105
.long 0xBF05CE05
.long 0xBF850235
.long 0x804C504C
.long 0x824D514D
.long 0xD0C60052, 0x00000A80
.long 0xD100000F, 0x014A1D09
.long 0xE05CD000, 0x8013600F
.long 0xBF8C0F7E
.long 0xD3B24018, 0x1802C918
.long 0xD3B2401A, 0x1802CD1A
.long 0x81858105
.long 0xBF05CE05
.long 0xBF850225
.long 0x804C504C
.long 0x824D514D
.long 0xD0C60052, 0x00000A80
.long 0xD100000F, 0x014A1D09
.long 0xE05CD000, 0x8013640F
.long 0xBF02CE05
.long 0xBF85FF0E
	;; [unrolled: 1-line block ×3, first 2 shown]
.long 0xD3B24018, 0x18025918
.long 0xD3B2401A, 0x18025D1A
.long 0xBF8C0F7C
.long 0xD3B24018, 0x18026118
.long 0xD3B2401A, 0x1802651A
.long 0xBF8C0F7B
.long 0xD3B24018, 0x18026918
.long 0xD3B2401A, 0x18026D1A
.long 0xBF8C0F7A
.long 0xD3B24018, 0x18027118
.long 0xD3B2401A, 0x1802751A
.long 0xBF8C0F79
.long 0xD3B24018, 0x18027918
.long 0xD3B2401A, 0x18027D1A
.long 0xBF8C0F78
.long 0xD3B24018, 0x18028118
.long 0xD3B2401A, 0x1802851A
.long 0xBF8C0F77
.long 0xD3B24018, 0x18028918
.long 0xD3B2401A, 0x18028D1A
.long 0xBF8C0F76
.long 0xD3B24018, 0x18029118
.long 0xD3B2401A, 0x1802951A
.long 0xBF8C0F75
.long 0xD3B24018, 0x18029918
.long 0xD3B2401A, 0x18029D1A
.long 0xBF8C0F74
.long 0xD3B24018, 0x1802A118
.long 0xD3B2401A, 0x1802A51A
.long 0xBF8C0F73
.long 0xD3B24018, 0x1802A918
.long 0xD3B2401A, 0x1802AD1A
.long 0xBF8C0F72
.long 0xD3B24018, 0x1802B118
.long 0xD3B2401A, 0x1802B51A
.long 0xBF8C0F71
.long 0xD3B24018, 0x1802B918
.long 0xD3B2401A, 0x1802BD1A
.long 0xBF8C0F70
.long 0xD3B24018, 0x1802C118
.long 0xD3B2401A, 0x1802C51A
.long 0xBF8201D4
.long 0xBF8C0F7C
.long 0xD3B24018, 0x18025918
.long 0xD3B2401A, 0x18025D1A
.long 0xBF8C0F7B
.long 0xD3B24018, 0x18026118
.long 0xD3B2401A, 0x1802651A
	;; [unrolled: 3-line block ×13, first 2 shown]
.long 0xBF820192
.long 0xBF8C0F7B
.long 0xD3B24018, 0x18025918
.long 0xD3B2401A, 0x18025D1A
.long 0xBF8C0F7A
.long 0xD3B24018, 0x18026118
.long 0xD3B2401A, 0x1802651A
	;; [unrolled: 3-line block ×12, first 2 shown]
.long 0xBF820155
.long 0xBF8C0F7A
.long 0xD3B24018, 0x18025918
.long 0xD3B2401A, 0x18025D1A
.long 0xBF8C0F79
.long 0xD3B24018, 0x18026118
.long 0xD3B2401A, 0x1802651A
	;; [unrolled: 3-line block ×11, first 2 shown]
.long 0xBF82011D
.long 0xBF8C0F79
.long 0xD3B24018, 0x18025918
.long 0xD3B2401A, 0x18025D1A
.long 0xBF8C0F78
.long 0xD3B24018, 0x18026118
.long 0xD3B2401A, 0x1802651A
	;; [unrolled: 3-line block ×10, first 2 shown]
.long 0xBF8200EA
.long 0xBF8C0F78
.long 0xD3B24018, 0x18025918
.long 0xD3B2401A, 0x18025D1A
.long 0xBF8C0F77
.long 0xD3B24018, 0x18026118
.long 0xD3B2401A, 0x1802651A
	;; [unrolled: 3-line block ×9, first 2 shown]
.long 0xBF8200BC
.long 0xBF8C0F77
.long 0xD3B24018, 0x18025918
.long 0xD3B2401A, 0x18025D1A
.long 0xBF8C0F76
.long 0xD3B24018, 0x18026118
.long 0xD3B2401A, 0x1802651A
	;; [unrolled: 3-line block ×8, first 2 shown]
.long 0xBF820093
.long 0xBF8C0F76
.long 0xD3B24018, 0x18025918
.long 0xD3B2401A, 0x18025D1A
.long 0xBF8C0F75
.long 0xD3B24018, 0x18026118
.long 0xD3B2401A, 0x1802651A
	;; [unrolled: 3-line block ×7, first 2 shown]
.long 0xBF82006F
.long 0xBF8C0F75
.long 0xD3B24018, 0x18025918
.long 0xD3B2401A, 0x18025D1A
.long 0xBF8C0F74
.long 0xD3B24018, 0x18026118
.long 0xD3B2401A, 0x1802651A
	;; [unrolled: 3-line block ×6, first 2 shown]
.long 0xBF820050
.long 0xBF8C0F74
.long 0xD3B24018, 0x18025918
.long 0xD3B2401A, 0x18025D1A
.long 0xBF8C0F73
.long 0xD3B24018, 0x18026118
.long 0xD3B2401A, 0x1802651A
	;; [unrolled: 3-line block ×5, first 2 shown]
.long 0xBF820036
.long 0xBF8C0F73
.long 0xD3B24018, 0x18025918
.long 0xD3B2401A, 0x18025D1A
.long 0xBF8C0F72
.long 0xD3B24018, 0x18026118
.long 0xD3B2401A, 0x1802651A
	;; [unrolled: 3-line block ×4, first 2 shown]
.long 0xBF820021
.long 0xBF8C0F72
.long 0xD3B24018, 0x18025918
.long 0xD3B2401A, 0x18025D1A
.long 0xBF8C0F71
.long 0xD3B24018, 0x18026118
.long 0xD3B2401A, 0x1802651A
	;; [unrolled: 3-line block ×3, first 2 shown]
.long 0xBF820011
.long 0xBF8C0F71
.long 0xD3B24018, 0x18025918
.long 0xD3B2401A, 0x18025D1A
.long 0xBF8C0F70
.long 0xD3B24018, 0x18026118
.long 0xD3B2401A, 0x1802651A
.long 0xBF820006
.long 0xBF8C0F70
.long 0xD3B24018, 0x18025918
.long 0xD3B2401A, 0x18025D1A
.long 0xBF820000
.long 0xBF0B8409
	;; [unrolled: 1-line block ×24, first 2 shown]
.long 0xE07CD000, 0x80031809
.long 0xBF800000
.long 0x804F8309
	;; [unrolled: 1-line block ×19, first 2 shown]
.long 0xC2330CCC, 0x00000000
.long 0x964D811C
.long 0x924C811C
.long 0x80D3811D
.long 0x92538153
.long 0x96522A53
.long 0x924E2A53
.long 0x804C4E4C
.long 0x824D524D
.long 0x80D3811E
.long 0x92538153
.long 0x96522B53
.long 0x924E2B53
.long 0x804C4E4C
.long 0x824D524D
.long 0x8ED0844C
.long 0xBE96000A
.long 0xBE97000B
.long 0x7E1C02FF, 0x80000000
.long 0xBECC0016
.long 0xBECD0017
	;; [unrolled: 1-line block ×9, first 2 shown]
.long 0xE05CD000, 0x80131809
.long 0xBE850032
.long 0x81858105
	;; [unrolled: 1-line block ×6, first 2 shown]
.long 0xE05CD000, 0x80132C09
.long 0x81858105
.long 0x804C504C
.long 0x824D514D
.long 0xBF008005
.long 0xBF850364
.long 0xE05CD000, 0x80133009
.long 0x81858105
.long 0x804C504C
.long 0x824D514D
.long 0xBF008005
.long 0xBF850352
	;; [unrolled: 6-line block ×14, first 2 shown]
.long 0xE05CD000, 0x80136409
.long 0xBF8C0F7E
.long 0xD3B24018, 0x18025918
.long 0xD3B2401A, 0x18025D1A
.long 0x81858105
.long 0xBF05CE05
.long 0xBF850305
.long 0x804C504C
.long 0x824D514D
.long 0xD0C60052, 0x00000A80
.long 0xD100000F, 0x014A1D09
.long 0xE05CD000, 0x80132C0F
.long 0xBF8C0F7E
.long 0xD3B24018, 0x18026118
.long 0xD3B2401A, 0x1802651A
.long 0x81858105
.long 0xBF05CE05
.long 0xBF8502F5
.long 0x804C504C
.long 0x824D514D
.long 0xD0C60052, 0x00000A80
.long 0xD100000F, 0x014A1D09
	;; [unrolled: 11-line block ×15, first 2 shown]
.long 0xE05CD000, 0x8013640F
.long 0xBF02CE05
.long 0xBF85FF0E
	;; [unrolled: 1-line block ×3, first 2 shown]
.long 0xD3B24018, 0x18025918
.long 0xD3B2401A, 0x18025D1A
.long 0xBF8C0F7C
.long 0xD3B24018, 0x18026118
.long 0xD3B2401A, 0x1802651A
.long 0xBF8C0F7B
.long 0xD3B24018, 0x18026918
.long 0xD3B2401A, 0x18026D1A
.long 0xBF8C0F7A
.long 0xD3B24018, 0x18027118
.long 0xD3B2401A, 0x1802751A
.long 0xBF8C0F79
.long 0xD3B24018, 0x18027918
.long 0xD3B2401A, 0x18027D1A
.long 0xBF8C0F78
.long 0xD3B24018, 0x18028118
.long 0xD3B2401A, 0x1802851A
.long 0xBF8C0F77
.long 0xD3B24018, 0x18028918
.long 0xD3B2401A, 0x18028D1A
.long 0xBF8C0F76
.long 0xD3B24018, 0x18029118
.long 0xD3B2401A, 0x1802951A
.long 0xBF8C0F75
.long 0xD3B24018, 0x18029918
.long 0xD3B2401A, 0x18029D1A
.long 0xBF8C0F74
.long 0xD3B24018, 0x1802A118
.long 0xD3B2401A, 0x1802A51A
.long 0xBF8C0F73
.long 0xD3B24018, 0x1802A918
.long 0xD3B2401A, 0x1802AD1A
.long 0xBF8C0F72
.long 0xD3B24018, 0x1802B118
.long 0xD3B2401A, 0x1802B51A
.long 0xBF8C0F71
.long 0xD3B24018, 0x1802B918
.long 0xD3B2401A, 0x1802BD1A
.long 0xBF8C0F70
.long 0xD3B24018, 0x1802C118
.long 0xD3B2401A, 0x1802C51A
.long 0xBF8201D4
.long 0xBF8C0F7C
.long 0xD3B24018, 0x18025918
.long 0xD3B2401A, 0x18025D1A
.long 0xBF8C0F7B
.long 0xD3B24018, 0x18026118
.long 0xD3B2401A, 0x1802651A
.long 0xBF8C0F7A
.long 0xD3B24018, 0x18026918
.long 0xD3B2401A, 0x18026D1A
.long 0xBF8C0F79
.long 0xD3B24018, 0x18027118
.long 0xD3B2401A, 0x1802751A
.long 0xBF8C0F78
.long 0xD3B24018, 0x18027918
.long 0xD3B2401A, 0x18027D1A
.long 0xBF8C0F77
.long 0xD3B24018, 0x18028118
.long 0xD3B2401A, 0x1802851A
.long 0xBF8C0F76
.long 0xD3B24018, 0x18028918
.long 0xD3B2401A, 0x18028D1A
.long 0xBF8C0F75
.long 0xD3B24018, 0x18029118
.long 0xD3B2401A, 0x1802951A
.long 0xBF8C0F74
.long 0xD3B24018, 0x18029918
.long 0xD3B2401A, 0x18029D1A
.long 0xBF8C0F73
.long 0xD3B24018, 0x1802A118
.long 0xD3B2401A, 0x1802A51A
.long 0xBF8C0F72
.long 0xD3B24018, 0x1802A918
.long 0xD3B2401A, 0x1802AD1A
.long 0xBF8C0F71
.long 0xD3B24018, 0x1802B118
.long 0xD3B2401A, 0x1802B51A
.long 0xBF8C0F70
.long 0xD3B24018, 0x1802B918
.long 0xD3B2401A, 0x1802BD1A
.long 0xBF820192
.long 0xBF8C0F7B
.long 0xD3B24018, 0x18025918
.long 0xD3B2401A, 0x18025D1A
.long 0xBF8C0F7A
.long 0xD3B24018, 0x18026118
.long 0xD3B2401A, 0x1802651A
	;; [unrolled: 3-line block ×12, first 2 shown]
.long 0xBF820155
.long 0xBF8C0F7A
.long 0xD3B24018, 0x18025918
.long 0xD3B2401A, 0x18025D1A
.long 0xBF8C0F79
.long 0xD3B24018, 0x18026118
.long 0xD3B2401A, 0x1802651A
	;; [unrolled: 3-line block ×11, first 2 shown]
.long 0xBF82011D
.long 0xBF8C0F79
.long 0xD3B24018, 0x18025918
.long 0xD3B2401A, 0x18025D1A
.long 0xBF8C0F78
.long 0xD3B24018, 0x18026118
.long 0xD3B2401A, 0x1802651A
	;; [unrolled: 3-line block ×10, first 2 shown]
.long 0xBF8200EA
.long 0xBF8C0F78
.long 0xD3B24018, 0x18025918
.long 0xD3B2401A, 0x18025D1A
.long 0xBF8C0F77
.long 0xD3B24018, 0x18026118
.long 0xD3B2401A, 0x1802651A
.long 0xBF8C0F76
.long 0xD3B24018, 0x18026918
.long 0xD3B2401A, 0x18026D1A
.long 0xBF8C0F75
.long 0xD3B24018, 0x18027118
.long 0xD3B2401A, 0x1802751A
.long 0xBF8C0F74
.long 0xD3B24018, 0x18027918
.long 0xD3B2401A, 0x18027D1A
.long 0xBF8C0F73
.long 0xD3B24018, 0x18028118
.long 0xD3B2401A, 0x1802851A
.long 0xBF8C0F72
.long 0xD3B24018, 0x18028918
.long 0xD3B2401A, 0x18028D1A
.long 0xBF8C0F71
.long 0xD3B24018, 0x18029118
.long 0xD3B2401A, 0x1802951A
.long 0xBF8C0F70
.long 0xD3B24018, 0x18029918
.long 0xD3B2401A, 0x18029D1A
.long 0xBF8200BC
.long 0xBF8C0F77
.long 0xD3B24018, 0x18025918
.long 0xD3B2401A, 0x18025D1A
.long 0xBF8C0F76
.long 0xD3B24018, 0x18026118
.long 0xD3B2401A, 0x1802651A
	;; [unrolled: 3-line block ×8, first 2 shown]
.long 0xBF820093
.long 0xBF8C0F76
.long 0xD3B24018, 0x18025918
.long 0xD3B2401A, 0x18025D1A
.long 0xBF8C0F75
.long 0xD3B24018, 0x18026118
.long 0xD3B2401A, 0x1802651A
	;; [unrolled: 3-line block ×7, first 2 shown]
.long 0xBF82006F
.long 0xBF8C0F75
.long 0xD3B24018, 0x18025918
.long 0xD3B2401A, 0x18025D1A
.long 0xBF8C0F74
.long 0xD3B24018, 0x18026118
.long 0xD3B2401A, 0x1802651A
	;; [unrolled: 3-line block ×6, first 2 shown]
.long 0xBF820050
.long 0xBF8C0F74
.long 0xD3B24018, 0x18025918
.long 0xD3B2401A, 0x18025D1A
.long 0xBF8C0F73
.long 0xD3B24018, 0x18026118
.long 0xD3B2401A, 0x1802651A
	;; [unrolled: 3-line block ×5, first 2 shown]
.long 0xBF820036
.long 0xBF8C0F73
.long 0xD3B24018, 0x18025918
.long 0xD3B2401A, 0x18025D1A
.long 0xBF8C0F72
.long 0xD3B24018, 0x18026118
.long 0xD3B2401A, 0x1802651A
	;; [unrolled: 3-line block ×4, first 2 shown]
.long 0xBF820021
.long 0xBF8C0F72
.long 0xD3B24018, 0x18025918
.long 0xD3B2401A, 0x18025D1A
.long 0xBF8C0F71
.long 0xD3B24018, 0x18026118
.long 0xD3B2401A, 0x1802651A
	;; [unrolled: 3-line block ×3, first 2 shown]
.long 0xBF820011
.long 0xBF8C0F71
.long 0xD3B24018, 0x18025918
.long 0xD3B2401A, 0x18025D1A
.long 0xBF8C0F70
.long 0xD3B24018, 0x18026118
.long 0xD3B2401A, 0x1802651A
.long 0xBF820006
.long 0xBF8C0F70
.long 0xD3B24018, 0x18025918
.long 0xD3B2401A, 0x18025D1A
.long 0xBF820000
.long 0x0A303030
	;; [unrolled: 1-line block ×5, first 2 shown]
.long 0xD0CC0034, 0x0001002E
.long 0xD1000014, 0x00D228F2
	;; [unrolled: 1-line block ×10, first 2 shown]
.long 0xBEC81E3E
.long 0x7E300304
	;; [unrolled: 1-line block ×5, first 2 shown]
.long 0xE07CD000, 0x8011180A
.long 0xBF800000
.long 0xBF800000
	;; [unrolled: 1-line block ×20, first 2 shown]
.long 0x813384FF, 0x0000C308
.long 0x803E333E
.long 0x823F803F
.long 0xBF820030
.long 0xBEBE1C00
.long 0x813384FF, 0x0000C2F4
.long 0x803E333E
.long 0x823F803F
.long 0xBF82002A
.long 0xBEBE1C00
	;; [unrolled: 5-line block ×8, first 2 shown]
.long 0x813384FF, 0x0000C320
.long 0x803E333E
.long 0x823F803F
	;; [unrolled: 1-line block ×3, first 2 shown]
.long 0x7E4A02FF, 0x80000000
.long 0xD0C9004A, 0x00003900
.long 0xD0C9004E, 0x00003B01
.long 0x86CE4E4A
.long 0x924A02C0
.long 0xD135000B, 0x00009500
.long 0x24161682
.long 0xD100000B, 0x013A1725
.long 0xBF8CC07F
.long 0xBF8A0000
.long 0xD86C0000, 0x0D00000B
.long 0x24180082
.long 0xE0501000, 0x800B0E0C
.long 0xD1FE0009, 0x020A0103
.long 0xD1000009, 0x013A1325
.long 0xD1FE000A, 0x020A0103
.long 0xD100000A, 0x013A1525
.long 0xD1196A04, 0x00010300
.long 0xD0C9004A, 0x00003904
.long 0xD0C9004E, 0x00003B01
.long 0x86CE4E4A
.long 0x924A02C0
.long 0xD1350012, 0x00009504
.long 0x24242482
.long 0xD1000012, 0x013A2525
.long 0xD86C0000, 0x14000012
.long 0x24260882
.long 0xE0501000, 0x800B1513
.long 0xD1FE0010, 0x020A0903
.long 0xD1000010, 0x013A2125
.long 0xD1FE0011, 0x020A0903
.long 0xD1000011, 0x013A2325
.long 0xD1196A04, 0x00010500
.long 0xD0C9004A, 0x00003904
.long 0xD0C9004E, 0x00003B01
.long 0x86CE4E4A
.long 0x924A02C0
.long 0xD1350019, 0x00009504
.long 0x24323282
.long 0xD1000019, 0x013A3325
	;; [unrolled: 15-line block ×3, first 2 shown]
.long 0xD86C0000, 0x22000020
.long 0x24420882
.long 0xE0501000, 0x800B2321
.long 0xD1FE001E, 0x020A0903
	;; [unrolled: 1-line block ×9, first 2 shown]
.long 0xBF800001
.long 0xE070D000, 0x80030F09
.long 0xE070D000, 0x80031610
	;; [unrolled: 1-line block ×4, first 2 shown]
.long 0xBF800000
.long 0xBE890032
	;; [unrolled: 1-line block ×25, first 2 shown]
.long 0xC2330CCC, 0x00000000
.long 0x9651811C
.long 0x9250811C
	;; [unrolled: 1-line block ×24, first 2 shown]
.long 0x7E4A02FF, 0x80000000
.long 0xBED00016
.long 0xBED10017
	;; [unrolled: 1-line block ×9, first 2 shown]
.long 0xE050D000, 0x80140F09
.long 0xBE850032
.long 0x81858105
	;; [unrolled: 1-line block ×6, first 2 shown]
.long 0xE050D000, 0x80142C09
.long 0x81858105
.long 0x80505450
.long 0x82515551
.long 0xBF008005
.long 0xBF8501FF
.long 0xE050D000, 0x80143009
.long 0x81858105
.long 0x80505450
.long 0x82515551
.long 0xBF008005
.long 0xBF8501F3
	;; [unrolled: 6-line block ×15, first 2 shown]
.long 0x80505450
.long 0x82515551
.long 0xD0C60056, 0x00000A80
.long 0xD1000026, 0x015A4B09
.long 0xE050D000, 0x80142C26
.long 0xBF8C0F7E
.long 0x021E610F
.long 0x81858105
.long 0xBF05CE05
.long 0xBF850193
.long 0x80505450
.long 0x82515551
.long 0xD0C60056, 0x00000A80
.long 0xD1000026, 0x015A4B09
.long 0xE050D000, 0x80143026
.long 0xBF8C0F7E
.long 0x021E690F
.long 0x81858105
.long 0xBF05CE05
.long 0xBF850186
	;; [unrolled: 10-line block ×15, first 2 shown]
.long 0x021E610F
.long 0xBF8C0F7B
	;; [unrolled: 1-line block ×221, first 2 shown]
.long 0x7E4A02FF, 0x80000000
.long 0xBED00016
.long 0xBED10017
	;; [unrolled: 1-line block ×4, first 2 shown]
.long 0xE050D000, 0x80141610
.long 0xBE850032
.long 0x81858105
.long 0x80505450
.long 0x82515551
.long 0xBF008005
.long 0xBF850209
.long 0xE050D000, 0x80142C10
.long 0x81858105
.long 0x80505450
.long 0x82515551
.long 0xBF008005
.long 0xBF8501FF
.long 0xE050D000, 0x80143010
.long 0x81858105
.long 0x80505450
.long 0x82515551
.long 0xBF008005
.long 0xBF8501F3
	;; [unrolled: 6-line block ×15, first 2 shown]
.long 0x80505450
.long 0x82515551
.long 0xD0C60056, 0x00000A80
.long 0xD1000026, 0x015A4B10
.long 0xE050D000, 0x80142C26
.long 0xBF8C0F7E
.long 0x022C6116
.long 0x81858105
.long 0xBF05CE05
.long 0xBF850193
.long 0x80505450
.long 0x82515551
.long 0xD0C60056, 0x00000A80
.long 0xD1000026, 0x015A4B10
.long 0xE050D000, 0x80143026
.long 0xBF8C0F7E
.long 0x022C6916
.long 0x81858105
.long 0xBF05CE05
.long 0xBF850186
	;; [unrolled: 10-line block ×15, first 2 shown]
.long 0x022C6116
.long 0xBF8C0F7B
	;; [unrolled: 1-line block ×221, first 2 shown]
.long 0x7E4A02FF, 0x80000000
.long 0xBED00016
.long 0xBED10017
	;; [unrolled: 1-line block ×4, first 2 shown]
.long 0xE050D000, 0x80141D17
.long 0xBE850032
.long 0x81858105
	;; [unrolled: 1-line block ×6, first 2 shown]
.long 0xE050D000, 0x80142C17
.long 0x81858105
.long 0x80505450
.long 0x82515551
.long 0xBF008005
.long 0xBF8501FF
.long 0xE050D000, 0x80143017
.long 0x81858105
.long 0x80505450
.long 0x82515551
.long 0xBF008005
.long 0xBF8501F3
.long 0xE050D000, 0x80143417
.long 0x81858105
.long 0x80505450
.long 0x82515551
.long 0xBF008005
.long 0xBF8501E5
.long 0xE050D000, 0x80143817
.long 0x81858105
.long 0x80505450
.long 0x82515551
.long 0xBF008005
.long 0xBF8501D5
.long 0xE050D000, 0x80143C17
.long 0x81858105
.long 0x80505450
.long 0x82515551
.long 0xBF008005
.long 0xBF8501C3
.long 0xE050D000, 0x80144017
.long 0x81858105
.long 0x80505450
.long 0x82515551
.long 0xBF008005
.long 0xBF8501AF
.long 0xE050D000, 0x80144417
.long 0x81858105
.long 0x80505450
.long 0x82515551
.long 0xBF008005
.long 0xBF850199
.long 0xE050D000, 0x80144817
.long 0x81858105
.long 0x80505450
.long 0x82515551
.long 0xBF008005
.long 0xBF850181
.long 0xE050D000, 0x80144C17
.long 0x81858105
.long 0x80505450
.long 0x82515551
.long 0xBF008005
.long 0xBF850167
.long 0xE050D000, 0x80145017
.long 0x81858105
.long 0x80505450
.long 0x82515551
.long 0xBF008005
.long 0xBF85014B
.long 0xE050D000, 0x80145417
.long 0x81858105
.long 0x80505450
.long 0x82515551
.long 0xBF008005
.long 0xBF85012D
.long 0xE050D000, 0x80145817
.long 0x81858105
.long 0x80505450
.long 0x82515551
.long 0xBF008005
.long 0xBF85010D
.long 0xE050D000, 0x80145C17
.long 0x81858105
.long 0x80505450
.long 0x82515551
.long 0xBF008005
.long 0xBF8500EB
.long 0xE050D000, 0x80146017
.long 0x81858105
.long 0x80505450
.long 0x82515551
.long 0xBF008005
.long 0xBF8500C7
.long 0xE050D000, 0x80146417
.long 0xBF8C0F7E
.long 0x023A591D
.long 0x81858105
.long 0xBF05CE05
.long 0xBF8501A0
.long 0x80505450
.long 0x82515551
.long 0xD0C60056, 0x00000A80
.long 0xD1000026, 0x015A4B17
.long 0xE050D000, 0x80142C26
.long 0xBF8C0F7E
.long 0x023A611D
.long 0x81858105
.long 0xBF05CE05
.long 0xBF850193
.long 0x80505450
.long 0x82515551
.long 0xD0C60056, 0x00000A80
.long 0xD1000026, 0x015A4B17
.long 0xE050D000, 0x80143026
.long 0xBF8C0F7E
.long 0x023A691D
.long 0x81858105
.long 0xBF05CE05
.long 0xBF850186
	;; [unrolled: 10-line block ×15, first 2 shown]
.long 0x023A611D
.long 0xBF8C0F7B
	;; [unrolled: 1-line block ×221, first 2 shown]
.long 0x7E4A02FF, 0x80000000
.long 0xBED00016
.long 0xBED10017
	;; [unrolled: 1-line block ×4, first 2 shown]
.long 0xE050D000, 0x8014241E
.long 0xBE850032
.long 0x81858105
	;; [unrolled: 1-line block ×6, first 2 shown]
.long 0xE050D000, 0x80142C1E
.long 0x81858105
.long 0x80505450
.long 0x82515551
.long 0xBF008005
.long 0xBF8501FF
.long 0xE050D000, 0x8014301E
.long 0x81858105
.long 0x80505450
.long 0x82515551
.long 0xBF008005
.long 0xBF8501F3
	;; [unrolled: 6-line block ×15, first 2 shown]
.long 0x80505450
.long 0x82515551
.long 0xD0C60056, 0x00000A80
.long 0xD1000026, 0x015A4B1E
.long 0xE050D000, 0x80142C26
.long 0xBF8C0F7E
.long 0x02486124
.long 0x81858105
.long 0xBF05CE05
.long 0xBF850193
.long 0x80505450
.long 0x82515551
.long 0xD0C60056, 0x00000A80
.long 0xD1000026, 0x015A4B1E
.long 0xE050D000, 0x80143026
.long 0xBF8C0F7E
.long 0x02486924
.long 0x81858105
.long 0xBF05CE05
.long 0xBF850186
	;; [unrolled: 10-line block ×15, first 2 shown]
.long 0x02486124
.long 0xBF8C0F7B
	;; [unrolled: 1-line block ×244, first 2 shown]
.long 0xE070D000, 0x80030F09
.long 0xE070D000, 0x80031610
	;; [unrolled: 1-line block ×4, first 2 shown]
.long 0xBF800000
.long 0x80538309
	;; [unrolled: 1-line block ×19, first 2 shown]
.long 0xC2330CCC, 0x00000000
.long 0x9651811C
.long 0x9250811C
	;; [unrolled: 1-line block ×17, first 2 shown]
.long 0x7E4A02FF, 0x80000000
.long 0xBED00016
.long 0xBED10017
	;; [unrolled: 1-line block ×9, first 2 shown]
.long 0xE050D000, 0x80140F09
.long 0xBE850032
.long 0x81858105
	;; [unrolled: 1-line block ×6, first 2 shown]
.long 0xE050D000, 0x80142C09
.long 0x81858105
.long 0x80505450
.long 0x82515551
.long 0xBF008005
.long 0xBF8501FF
.long 0xE050D000, 0x80143009
.long 0x81858105
.long 0x80505450
.long 0x82515551
.long 0xBF008005
.long 0xBF8501F3
	;; [unrolled: 6-line block ×15, first 2 shown]
.long 0x80505450
.long 0x82515551
.long 0xD0C60056, 0x00000A80
.long 0xD1000026, 0x015A4B09
.long 0xE050D000, 0x80142C26
.long 0xBF8C0F7E
.long 0x021E610F
.long 0x81858105
.long 0xBF05CE05
.long 0xBF850193
.long 0x80505450
.long 0x82515551
.long 0xD0C60056, 0x00000A80
.long 0xD1000026, 0x015A4B09
.long 0xE050D000, 0x80143026
.long 0xBF8C0F7E
.long 0x021E690F
.long 0x81858105
.long 0xBF05CE05
.long 0xBF850186
	;; [unrolled: 10-line block ×15, first 2 shown]
.long 0x021E610F
.long 0xBF8C0F7B
	;; [unrolled: 1-line block ×221, first 2 shown]
.long 0x7E4A02FF, 0x80000000
.long 0xBED00016
.long 0xBED10017
	;; [unrolled: 1-line block ×4, first 2 shown]
.long 0xE050D000, 0x80141610
.long 0xBE850032
.long 0x81858105
.long 0x80505450
.long 0x82515551
.long 0xBF008005
.long 0xBF850209
.long 0xE050D000, 0x80142C10
.long 0x81858105
.long 0x80505450
.long 0x82515551
.long 0xBF008005
.long 0xBF8501FF
.long 0xE050D000, 0x80143010
.long 0x81858105
.long 0x80505450
.long 0x82515551
.long 0xBF008005
.long 0xBF8501F3
	;; [unrolled: 6-line block ×15, first 2 shown]
.long 0x80505450
.long 0x82515551
.long 0xD0C60056, 0x00000A80
.long 0xD1000026, 0x015A4B10
.long 0xE050D000, 0x80142C26
.long 0xBF8C0F7E
.long 0x022C6116
.long 0x81858105
.long 0xBF05CE05
.long 0xBF850193
.long 0x80505450
.long 0x82515551
.long 0xD0C60056, 0x00000A80
.long 0xD1000026, 0x015A4B10
.long 0xE050D000, 0x80143026
.long 0xBF8C0F7E
.long 0x022C6916
.long 0x81858105
.long 0xBF05CE05
.long 0xBF850186
	;; [unrolled: 10-line block ×15, first 2 shown]
.long 0x022C6116
.long 0xBF8C0F7B
	;; [unrolled: 1-line block ×221, first 2 shown]
.long 0x7E4A02FF, 0x80000000
.long 0xBED00016
.long 0xBED10017
	;; [unrolled: 1-line block ×4, first 2 shown]
.long 0xE050D000, 0x80141D17
.long 0xBE850032
.long 0x81858105
	;; [unrolled: 1-line block ×6, first 2 shown]
.long 0xE050D000, 0x80142C17
.long 0x81858105
.long 0x80505450
.long 0x82515551
.long 0xBF008005
.long 0xBF8501FF
.long 0xE050D000, 0x80143017
.long 0x81858105
.long 0x80505450
.long 0x82515551
.long 0xBF008005
.long 0xBF8501F3
	;; [unrolled: 6-line block ×15, first 2 shown]
.long 0x80505450
.long 0x82515551
.long 0xD0C60056, 0x00000A80
.long 0xD1000026, 0x015A4B17
.long 0xE050D000, 0x80142C26
.long 0xBF8C0F7E
.long 0x023A611D
.long 0x81858105
.long 0xBF05CE05
.long 0xBF850193
.long 0x80505450
.long 0x82515551
.long 0xD0C60056, 0x00000A80
.long 0xD1000026, 0x015A4B17
.long 0xE050D000, 0x80143026
.long 0xBF8C0F7E
.long 0x023A691D
.long 0x81858105
.long 0xBF05CE05
.long 0xBF850186
.long 0x80505450
.long 0x82515551
.long 0xD0C60056, 0x00000A80
.long 0xD1000026, 0x015A4B17
.long 0xE050D000, 0x80143426
.long 0xBF8C0F7E
.long 0x023A711D
.long 0x81858105
.long 0xBF05CE05
.long 0xBF850179
.long 0x80505450
.long 0x82515551
.long 0xD0C60056, 0x00000A80
.long 0xD1000026, 0x015A4B17
.long 0xE050D000, 0x80143826
.long 0xBF8C0F7E
.long 0x023A791D
.long 0x81858105
.long 0xBF05CE05
.long 0xBF85016C
.long 0x80505450
.long 0x82515551
.long 0xD0C60056, 0x00000A80
.long 0xD1000026, 0x015A4B17
.long 0xE050D000, 0x80143C26
.long 0xBF8C0F7E
.long 0x023A811D
.long 0x81858105
.long 0xBF05CE05
.long 0xBF85015F
.long 0x80505450
.long 0x82515551
.long 0xD0C60056, 0x00000A80
.long 0xD1000026, 0x015A4B17
.long 0xE050D000, 0x80144026
.long 0xBF8C0F7E
.long 0x023A891D
.long 0x81858105
.long 0xBF05CE05
.long 0xBF850152
.long 0x80505450
.long 0x82515551
.long 0xD0C60056, 0x00000A80
.long 0xD1000026, 0x015A4B17
.long 0xE050D000, 0x80144426
.long 0xBF8C0F7E
.long 0x023A911D
.long 0x81858105
.long 0xBF05CE05
.long 0xBF850145
.long 0x80505450
.long 0x82515551
.long 0xD0C60056, 0x00000A80
.long 0xD1000026, 0x015A4B17
.long 0xE050D000, 0x80144826
.long 0xBF8C0F7E
.long 0x023A991D
.long 0x81858105
.long 0xBF05CE05
.long 0xBF850138
.long 0x80505450
.long 0x82515551
.long 0xD0C60056, 0x00000A80
.long 0xD1000026, 0x015A4B17
.long 0xE050D000, 0x80144C26
.long 0xBF8C0F7E
.long 0x023AA11D
.long 0x81858105
.long 0xBF05CE05
.long 0xBF85012B
.long 0x80505450
.long 0x82515551
.long 0xD0C60056, 0x00000A80
.long 0xD1000026, 0x015A4B17
.long 0xE050D000, 0x80145026
.long 0xBF8C0F7E
.long 0x023AA91D
.long 0x81858105
.long 0xBF05CE05
.long 0xBF85011E
.long 0x80505450
.long 0x82515551
.long 0xD0C60056, 0x00000A80
.long 0xD1000026, 0x015A4B17
.long 0xE050D000, 0x80145426
.long 0xBF8C0F7E
.long 0x023AB11D
.long 0x81858105
.long 0xBF05CE05
.long 0xBF850111
.long 0x80505450
.long 0x82515551
.long 0xD0C60056, 0x00000A80
.long 0xD1000026, 0x015A4B17
.long 0xE050D000, 0x80145826
.long 0xBF8C0F7E
.long 0x023AB91D
.long 0x81858105
.long 0xBF05CE05
.long 0xBF850104
.long 0x80505450
.long 0x82515551
.long 0xD0C60056, 0x00000A80
.long 0xD1000026, 0x015A4B17
.long 0xE050D000, 0x80145C26
.long 0xBF8C0F7E
.long 0x023AC11D
.long 0x81858105
.long 0xBF05CE05
.long 0xBF8500F7
.long 0x80505450
.long 0x82515551
.long 0xD0C60056, 0x00000A80
.long 0xD1000026, 0x015A4B17
.long 0xE050D000, 0x80146026
.long 0xBF8C0F7E
.long 0x023AC91D
.long 0x81858105
.long 0xBF05CE05
.long 0xBF8500EA
.long 0x80505450
.long 0x82515551
.long 0xD0C60056, 0x00000A80
.long 0xD1000026, 0x015A4B17
.long 0xE050D000, 0x80146426
.long 0xBF02CE05
.long 0xBF85FF3B
.long 0xBF8C0F7D
.long 0x023A591D
.long 0xBF8C0F7C
.long 0x023A611D
.long 0xBF8C0F7B
	;; [unrolled: 1-line block ×221, first 2 shown]
.long 0x7E4A02FF, 0x80000000
.long 0xBED00016
.long 0xBED10017
	;; [unrolled: 1-line block ×4, first 2 shown]
.long 0xE050D000, 0x8014241E
.long 0xBE850032
.long 0x81858105
.long 0x80505450
.long 0x82515551
.long 0xBF008005
.long 0xBF850209
.long 0xE050D000, 0x80142C1E
.long 0x81858105
.long 0x80505450
.long 0x82515551
.long 0xBF008005
.long 0xBF8501FF
.long 0xE050D000, 0x8014301E
.long 0x81858105
.long 0x80505450
.long 0x82515551
.long 0xBF008005
.long 0xBF8501F3
	;; [unrolled: 6-line block ×15, first 2 shown]
.long 0x80505450
.long 0x82515551
.long 0xD0C60056, 0x00000A80
.long 0xD1000026, 0x015A4B1E
.long 0xE050D000, 0x80142C26
.long 0xBF8C0F7E
.long 0x02486124
.long 0x81858105
.long 0xBF05CE05
.long 0xBF850193
.long 0x80505450
.long 0x82515551
.long 0xD0C60056, 0x00000A80
.long 0xD1000026, 0x015A4B1E
.long 0xE050D000, 0x80143026
.long 0xBF8C0F7E
.long 0x02486924
.long 0x81858105
.long 0xBF05CE05
.long 0xBF850186
	;; [unrolled: 10-line block ×15, first 2 shown]
.long 0x02486124
.long 0xBF8C0F7B
	;; [unrolled: 1-line block ×226, first 2 shown]
.long 0xD0CC0034, 0x0001002E
.long 0xD100000E, 0x00D21CF2
.long 0x0A1E1F0E
.long 0x02081F0D
.long 0xBEC81E3E
.long 0x7E1E0304
.long 0xE070D000, 0x80110F0A
.long 0xBF800000
.long 0xD0CC0034, 0x0001002E
.long 0xD1000015, 0x00D22AF2
.long 0x0A2C2D15
.long 0x02082D14
.long 0xBEC81E3E
.long 0x7E2C0304
.long 0xE070D000, 0x80111611
.long 0xBF800000
	;; [unrolled: 8-line block ×4, first 2 shown]
.long 0xBF800000
.long 0xBF821A62
	;; [unrolled: 1-line block ×31, first 2 shown]
.long 0x813384FF, 0x0000760C
.long 0x803E333E
.long 0x823F803F
.long 0xBF820030
.long 0xBEBE1C00
.long 0x813384FF, 0x000075F8
.long 0x803E333E
.long 0x823F803F
.long 0xBF82002A
.long 0xBEBE1C00
	;; [unrolled: 5-line block ×8, first 2 shown]
.long 0x813384FF, 0x0000784C
.long 0x803E333E
.long 0x823F803F
	;; [unrolled: 1-line block ×3, first 2 shown]
.long 0xD1FE000B, 0x020A0102
.long 0xE05C1000, 0x8004100B
.long 0x924A02C0
.long 0xD135000C, 0x00009500
.long 0x24181882
.long 0xBF8CC07F
	;; [unrolled: 1-line block ×3, first 2 shown]
.long 0xD9FE0000, 0x1400000C
.long 0x241A0082
.long 0xE05C1000, 0x800B180D
.long 0xD1FE0009, 0x020A0103
	;; [unrolled: 1-line block ×7, first 2 shown]
.long 0xBF800001
.long 0xE07CD000, 0x80031C09
.long 0xBF800000
.long 0xBE890032
	;; [unrolled: 1-line block ×25, first 2 shown]
.long 0xC2330CCC, 0x00000000
.long 0x964D811C
.long 0x924C811C
.long 0x80D3811D
.long 0x92538153
.long 0x96522A53
.long 0x924E2A53
.long 0x804C4E4C
.long 0x824D524D
.long 0x80D3811E
.long 0x92538153
.long 0x96522B53
.long 0x924E2B53
.long 0x804C4E4C
.long 0x824D524D
.long 0x8ED0824C
.long 0xBE8A0016
.long 0xBE8B0017
.long 0x8E4C823D
.long 0x96524C50
.long 0x924E4C50
.long 0x92534C51
.long 0x80525352
.long 0x80164E16
.long 0x82175217
.long 0x7E1C02FF, 0x80000000
.long 0xBECC0016
.long 0xBECD0017
.long 0xBECE000E
.long 0xBECF000F
.long 0xBF8CC07F
.long 0xBF068132
.long 0xBF850395
.long 0xBF068133
.long 0xBF840764
.long 0xE05CD000, 0x80131C09
.long 0xBE850032
.long 0x81858105
	;; [unrolled: 1-line block ×6, first 2 shown]
.long 0xE05CD000, 0x80132C09
.long 0x81858105
.long 0x804C504C
.long 0x824D514D
.long 0xBF008005
.long 0xBF850364
.long 0xE05CD000, 0x80133009
.long 0x81858105
.long 0x804C504C
.long 0x824D514D
.long 0xBF008005
.long 0xBF850352
	;; [unrolled: 6-line block ×14, first 2 shown]
.long 0xE05CD000, 0x80136409
.long 0xBF8C0F7E
.long 0xD3B2401C, 0x1802591C
.long 0xD3B2401E, 0x18025D1E
.long 0x81858105
.long 0xBF05CE05
.long 0xBF850305
.long 0x804C504C
.long 0x824D514D
.long 0xD0C60052, 0x00000A80
.long 0xD100000F, 0x014A1D09
.long 0xE05CD000, 0x80132C0F
.long 0xBF8C0F7E
.long 0xD3B2401C, 0x1802611C
.long 0xD3B2401E, 0x1802651E
.long 0x81858105
.long 0xBF05CE05
.long 0xBF8502F5
.long 0x804C504C
.long 0x824D514D
.long 0xD0C60052, 0x00000A80
.long 0xD100000F, 0x014A1D09
	;; [unrolled: 11-line block ×15, first 2 shown]
.long 0xE05CD000, 0x8013640F
.long 0xBF02CE05
.long 0xBF85FF0E
	;; [unrolled: 1-line block ×3, first 2 shown]
.long 0xD3B2401C, 0x1802591C
.long 0xD3B2401E, 0x18025D1E
.long 0xBF8C0F7C
.long 0xD3B2401C, 0x1802611C
.long 0xD3B2401E, 0x1802651E
.long 0xBF8C0F7B
	;; [unrolled: 3-line block ×14, first 2 shown]
.long 0xBF8C0F7C
.long 0xD3B2401C, 0x1802591C
.long 0xD3B2401E, 0x18025D1E
.long 0xBF8C0F7B
.long 0xD3B2401C, 0x1802611C
.long 0xD3B2401E, 0x1802651E
	;; [unrolled: 3-line block ×13, first 2 shown]
.long 0xBF820192
.long 0xBF8C0F7B
.long 0xD3B2401C, 0x1802591C
.long 0xD3B2401E, 0x18025D1E
.long 0xBF8C0F7A
.long 0xD3B2401C, 0x1802611C
.long 0xD3B2401E, 0x1802651E
	;; [unrolled: 3-line block ×12, first 2 shown]
.long 0xBF820155
.long 0xBF8C0F7A
.long 0xD3B2401C, 0x1802591C
.long 0xD3B2401E, 0x18025D1E
.long 0xBF8C0F79
.long 0xD3B2401C, 0x1802611C
.long 0xD3B2401E, 0x1802651E
	;; [unrolled: 3-line block ×11, first 2 shown]
.long 0xBF82011D
.long 0xBF8C0F79
.long 0xD3B2401C, 0x1802591C
.long 0xD3B2401E, 0x18025D1E
.long 0xBF8C0F78
.long 0xD3B2401C, 0x1802611C
.long 0xD3B2401E, 0x1802651E
	;; [unrolled: 3-line block ×10, first 2 shown]
.long 0xBF8200EA
.long 0xBF8C0F78
.long 0xD3B2401C, 0x1802591C
.long 0xD3B2401E, 0x18025D1E
.long 0xBF8C0F77
.long 0xD3B2401C, 0x1802611C
.long 0xD3B2401E, 0x1802651E
	;; [unrolled: 3-line block ×9, first 2 shown]
.long 0xBF8200BC
.long 0xBF8C0F77
.long 0xD3B2401C, 0x1802591C
.long 0xD3B2401E, 0x18025D1E
.long 0xBF8C0F76
.long 0xD3B2401C, 0x1802611C
.long 0xD3B2401E, 0x1802651E
	;; [unrolled: 3-line block ×8, first 2 shown]
.long 0xBF820093
.long 0xBF8C0F76
.long 0xD3B2401C, 0x1802591C
.long 0xD3B2401E, 0x18025D1E
.long 0xBF8C0F75
.long 0xD3B2401C, 0x1802611C
.long 0xD3B2401E, 0x1802651E
	;; [unrolled: 3-line block ×7, first 2 shown]
.long 0xBF82006F
.long 0xBF8C0F75
.long 0xD3B2401C, 0x1802591C
.long 0xD3B2401E, 0x18025D1E
.long 0xBF8C0F74
.long 0xD3B2401C, 0x1802611C
.long 0xD3B2401E, 0x1802651E
.long 0xBF8C0F73
.long 0xD3B2401C, 0x1802691C
.long 0xD3B2401E, 0x18026D1E
.long 0xBF8C0F72
.long 0xD3B2401C, 0x1802711C
.long 0xD3B2401E, 0x1802751E
.long 0xBF8C0F71
.long 0xD3B2401C, 0x1802791C
.long 0xD3B2401E, 0x18027D1E
.long 0xBF8C0F70
.long 0xD3B2401C, 0x1802811C
.long 0xD3B2401E, 0x1802851E
.long 0xBF820050
.long 0xBF8C0F74
.long 0xD3B2401C, 0x1802591C
.long 0xD3B2401E, 0x18025D1E
.long 0xBF8C0F73
.long 0xD3B2401C, 0x1802611C
.long 0xD3B2401E, 0x1802651E
	;; [unrolled: 3-line block ×5, first 2 shown]
.long 0xBF820036
.long 0xBF8C0F73
.long 0xD3B2401C, 0x1802591C
.long 0xD3B2401E, 0x18025D1E
.long 0xBF8C0F72
.long 0xD3B2401C, 0x1802611C
.long 0xD3B2401E, 0x1802651E
	;; [unrolled: 3-line block ×4, first 2 shown]
.long 0xBF820021
.long 0xBF8C0F72
.long 0xD3B2401C, 0x1802591C
.long 0xD3B2401E, 0x18025D1E
.long 0xBF8C0F71
.long 0xD3B2401C, 0x1802611C
.long 0xD3B2401E, 0x1802651E
	;; [unrolled: 3-line block ×3, first 2 shown]
.long 0xBF820011
.long 0xBF8C0F71
.long 0xD3B2401C, 0x1802591C
.long 0xD3B2401E, 0x18025D1E
.long 0xBF8C0F70
.long 0xD3B2401C, 0x1802611C
.long 0xD3B2401E, 0x1802651E
.long 0xBF820006
.long 0xBF8C0F70
.long 0xD3B2401C, 0x1802591C
.long 0xD3B2401E, 0x18025D1E
.long 0xBF820000
.long 0xBF0B8409
	;; [unrolled: 1-line block ×24, first 2 shown]
.long 0xE07CD000, 0x80031C09
.long 0xBF800000
.long 0x804F8309
	;; [unrolled: 1-line block ×19, first 2 shown]
.long 0xC2330CCC, 0x00000000
.long 0x964D811C
.long 0x924C811C
	;; [unrolled: 1-line block ×17, first 2 shown]
.long 0x7E1C02FF, 0x80000000
.long 0xBECC0016
.long 0xBECD0017
	;; [unrolled: 1-line block ×9, first 2 shown]
.long 0xE05CD000, 0x80131C09
.long 0xBE850032
.long 0x81858105
	;; [unrolled: 1-line block ×6, first 2 shown]
.long 0xE05CD000, 0x80132C09
.long 0x81858105
.long 0x804C504C
.long 0x824D514D
.long 0xBF008005
.long 0xBF850364
.long 0xE05CD000, 0x80133009
.long 0x81858105
.long 0x804C504C
.long 0x824D514D
.long 0xBF008005
.long 0xBF850352
	;; [unrolled: 6-line block ×14, first 2 shown]
.long 0xE05CD000, 0x80136409
.long 0xBF8C0F7E
.long 0xD3B2401C, 0x1802591C
.long 0xD3B2401E, 0x18025D1E
.long 0x81858105
.long 0xBF05CE05
.long 0xBF850305
.long 0x804C504C
.long 0x824D514D
.long 0xD0C60052, 0x00000A80
.long 0xD100000F, 0x014A1D09
.long 0xE05CD000, 0x80132C0F
.long 0xBF8C0F7E
.long 0xD3B2401C, 0x1802611C
.long 0xD3B2401E, 0x1802651E
.long 0x81858105
.long 0xBF05CE05
.long 0xBF8502F5
.long 0x804C504C
.long 0x824D514D
.long 0xD0C60052, 0x00000A80
.long 0xD100000F, 0x014A1D09
	;; [unrolled: 11-line block ×15, first 2 shown]
.long 0xE05CD000, 0x8013640F
.long 0xBF02CE05
.long 0xBF85FF0E
.long 0xBF8C0F7D
.long 0xD3B2401C, 0x1802591C
.long 0xD3B2401E, 0x18025D1E
.long 0xBF8C0F7C
.long 0xD3B2401C, 0x1802611C
.long 0xD3B2401E, 0x1802651E
.long 0xBF8C0F7B
.long 0xD3B2401C, 0x1802691C
.long 0xD3B2401E, 0x18026D1E
.long 0xBF8C0F7A
.long 0xD3B2401C, 0x1802711C
.long 0xD3B2401E, 0x1802751E
.long 0xBF8C0F79
.long 0xD3B2401C, 0x1802791C
.long 0xD3B2401E, 0x18027D1E
.long 0xBF8C0F78
.long 0xD3B2401C, 0x1802811C
.long 0xD3B2401E, 0x1802851E
.long 0xBF8C0F77
.long 0xD3B2401C, 0x1802891C
.long 0xD3B2401E, 0x18028D1E
.long 0xBF8C0F76
.long 0xD3B2401C, 0x1802911C
.long 0xD3B2401E, 0x1802951E
.long 0xBF8C0F75
.long 0xD3B2401C, 0x1802991C
.long 0xD3B2401E, 0x18029D1E
.long 0xBF8C0F74
.long 0xD3B2401C, 0x1802A11C
.long 0xD3B2401E, 0x1802A51E
.long 0xBF8C0F73
.long 0xD3B2401C, 0x1802A91C
.long 0xD3B2401E, 0x1802AD1E
.long 0xBF8C0F72
.long 0xD3B2401C, 0x1802B11C
.long 0xD3B2401E, 0x1802B51E
.long 0xBF8C0F71
.long 0xD3B2401C, 0x1802B91C
.long 0xD3B2401E, 0x1802BD1E
.long 0xBF8C0F70
.long 0xD3B2401C, 0x1802C11C
.long 0xD3B2401E, 0x1802C51E
.long 0xBF8201D4
.long 0xBF8C0F7C
.long 0xD3B2401C, 0x1802591C
.long 0xD3B2401E, 0x18025D1E
.long 0xBF8C0F7B
.long 0xD3B2401C, 0x1802611C
.long 0xD3B2401E, 0x1802651E
	;; [unrolled: 3-line block ×13, first 2 shown]
.long 0xBF820192
.long 0xBF8C0F7B
.long 0xD3B2401C, 0x1802591C
.long 0xD3B2401E, 0x18025D1E
.long 0xBF8C0F7A
.long 0xD3B2401C, 0x1802611C
.long 0xD3B2401E, 0x1802651E
	;; [unrolled: 3-line block ×12, first 2 shown]
.long 0xBF820155
.long 0xBF8C0F7A
.long 0xD3B2401C, 0x1802591C
.long 0xD3B2401E, 0x18025D1E
.long 0xBF8C0F79
.long 0xD3B2401C, 0x1802611C
.long 0xD3B2401E, 0x1802651E
	;; [unrolled: 3-line block ×11, first 2 shown]
.long 0xBF82011D
.long 0xBF8C0F79
.long 0xD3B2401C, 0x1802591C
.long 0xD3B2401E, 0x18025D1E
.long 0xBF8C0F78
.long 0xD3B2401C, 0x1802611C
.long 0xD3B2401E, 0x1802651E
	;; [unrolled: 3-line block ×10, first 2 shown]
.long 0xBF8200EA
.long 0xBF8C0F78
.long 0xD3B2401C, 0x1802591C
.long 0xD3B2401E, 0x18025D1E
.long 0xBF8C0F77
.long 0xD3B2401C, 0x1802611C
.long 0xD3B2401E, 0x1802651E
	;; [unrolled: 3-line block ×9, first 2 shown]
.long 0xBF8200BC
.long 0xBF8C0F77
.long 0xD3B2401C, 0x1802591C
.long 0xD3B2401E, 0x18025D1E
.long 0xBF8C0F76
.long 0xD3B2401C, 0x1802611C
.long 0xD3B2401E, 0x1802651E
	;; [unrolled: 3-line block ×8, first 2 shown]
.long 0xBF820093
.long 0xBF8C0F76
.long 0xD3B2401C, 0x1802591C
.long 0xD3B2401E, 0x18025D1E
.long 0xBF8C0F75
.long 0xD3B2401C, 0x1802611C
.long 0xD3B2401E, 0x1802651E
	;; [unrolled: 3-line block ×7, first 2 shown]
.long 0xBF82006F
.long 0xBF8C0F75
.long 0xD3B2401C, 0x1802591C
.long 0xD3B2401E, 0x18025D1E
.long 0xBF8C0F74
.long 0xD3B2401C, 0x1802611C
.long 0xD3B2401E, 0x1802651E
	;; [unrolled: 3-line block ×6, first 2 shown]
.long 0xBF820050
.long 0xBF8C0F74
.long 0xD3B2401C, 0x1802591C
.long 0xD3B2401E, 0x18025D1E
.long 0xBF8C0F73
.long 0xD3B2401C, 0x1802611C
.long 0xD3B2401E, 0x1802651E
	;; [unrolled: 3-line block ×5, first 2 shown]
.long 0xBF820036
.long 0xBF8C0F73
.long 0xD3B2401C, 0x1802591C
.long 0xD3B2401E, 0x18025D1E
.long 0xBF8C0F72
.long 0xD3B2401C, 0x1802611C
.long 0xD3B2401E, 0x1802651E
	;; [unrolled: 3-line block ×4, first 2 shown]
.long 0xBF820021
.long 0xBF8C0F72
.long 0xD3B2401C, 0x1802591C
.long 0xD3B2401E, 0x18025D1E
.long 0xBF8C0F71
.long 0xD3B2401C, 0x1802611C
.long 0xD3B2401E, 0x1802651E
	;; [unrolled: 3-line block ×3, first 2 shown]
.long 0xBF820011
.long 0xBF8C0F71
.long 0xD3B2401C, 0x1802591C
.long 0xD3B2401E, 0x18025D1E
.long 0xBF8C0F70
.long 0xD3B2401C, 0x1802611C
.long 0xD3B2401E, 0x1802651E
.long 0xBF820006
.long 0xBF8C0F70
.long 0xD3B2401C, 0x1802591C
.long 0xD3B2401E, 0x18025D1E
.long 0xBF820000
.long 0x0A383830
	;; [unrolled: 1-line block ×5, first 2 shown]
.long 0xD0CC0034, 0x0001002E
.long 0xD1000018, 0x00D230F2
	;; [unrolled: 1-line block ×14, first 2 shown]
.long 0xBEC81E3E
.long 0x7E380304
	;; [unrolled: 1-line block ×5, first 2 shown]
.long 0xE07CD000, 0x80111C0A
.long 0xBF800000
.long 0xBF800000
	;; [unrolled: 1-line block ×20, first 2 shown]
.long 0x813384FF, 0x00005A00
.long 0x803E333E
.long 0x823F803F
.long 0xBF820030
.long 0xBEBE1C00
.long 0x813384FF, 0x000059EC
.long 0x803E333E
.long 0x823F803F
.long 0xBF82002A
.long 0xBEBE1C00
	;; [unrolled: 5-line block ×8, first 2 shown]
.long 0x813384FF, 0x00005A18
.long 0x803E333E
.long 0x823F803F
	;; [unrolled: 1-line block ×3, first 2 shown]
.long 0x7E5202FF, 0x80000000
.long 0xD0C9004A, 0x00003900
.long 0xD0C9004E, 0x00003B01
.long 0x86CE4E4A
.long 0xD1FE0009, 0x020A0102
.long 0xD1000009, 0x013A1329
	;; [unrolled: 1-line block ×3, first 2 shown]
.long 0x924A02C0
.long 0xD135000B, 0x00009500
.long 0x24161682
.long 0xD100000B, 0x013A1729
.long 0xBF8CC07F
.long 0xBF8A0000
.long 0xD86C0000, 0x0E00000B
.long 0x24180082
.long 0xE0501000, 0x800B0F0C
.long 0xD1FE0009, 0x020A0103
.long 0xD1000009, 0x013A1329
.long 0xD1FE000A, 0x020A0103
.long 0xD100000A, 0x013A1529
.long 0xD1196A04, 0x00010300
.long 0xD0C9004A, 0x00003904
.long 0xD0C9004E, 0x00003B01
.long 0x86CE4E4A
.long 0xD1FE0011, 0x020A0902
.long 0xD1000011, 0x013A2329
.long 0xE0501000, 0x80041511
.long 0x924A02C0
.long 0xD1350013, 0x00009504
.long 0x24262682
.long 0xD1000013, 0x013A2729
.long 0xD86C0000, 0x16000013
.long 0x24280882
.long 0xE0501000, 0x800B1714
.long 0xD1FE0011, 0x020A0903
.long 0xD1000011, 0x013A2329
.long 0xD1FE0012, 0x020A0903
.long 0xD1000012, 0x013A2529
.long 0xD1196A04, 0x00010500
.long 0xD0C9004A, 0x00003904
.long 0xD0C9004E, 0x00003B01
.long 0x86CE4E4A
.long 0xD1FE0019, 0x020A0902
.long 0xD1000019, 0x013A3329
.long 0xE0501000, 0x80041D19
.long 0x924A02C0
.long 0xD135001B, 0x00009504
.long 0x24363682
.long 0xD100001B, 0x013A3729
	;; [unrolled: 18-line block ×3, first 2 shown]
.long 0xD86C0000, 0x26000023
.long 0x24480882
.long 0xE0501000, 0x800B2724
.long 0xD1FE0021, 0x020A0903
	;; [unrolled: 1-line block ×9, first 2 shown]
.long 0xBF800001
.long 0xE070D000, 0x80031009
.long 0xE070D000, 0x80031811
	;; [unrolled: 1-line block ×4, first 2 shown]
.long 0xBF800000
.long 0xBE890032
	;; [unrolled: 1-line block ×25, first 2 shown]
.long 0xC2330CCC, 0x00000000
.long 0x9651811C
.long 0x9250811C
	;; [unrolled: 1-line block ×24, first 2 shown]
.long 0x7E5202FF, 0x80000000
.long 0xBED00016
.long 0xBED10017
.long 0xBED2000E
.long 0xBED3000F
.long 0xBF8CC07F
.long 0xBF068132
.long 0xBF850878
.long 0xBF068133
.long 0xBF841135
.long 0xE050D000, 0x80141009
.long 0xBE850032
.long 0x81858105
	;; [unrolled: 1-line block ×6, first 2 shown]
.long 0xE050D000, 0x80142C09
.long 0x81858105
.long 0x80505450
.long 0x82515551
.long 0xBF008005
.long 0xBF8501FF
.long 0xE050D000, 0x80143009
.long 0x81858105
.long 0x80505450
.long 0x82515551
.long 0xBF008005
.long 0xBF8501F3
	;; [unrolled: 6-line block ×15, first 2 shown]
.long 0x80505450
.long 0x82515551
.long 0xD0C60056, 0x00000A80
.long 0xD100002B, 0x015A5309
.long 0xE050D000, 0x80142C2B
.long 0xBF8C0F7E
.long 0x02206110
.long 0x81858105
.long 0xBF05CE05
.long 0xBF850193
.long 0x80505450
.long 0x82515551
.long 0xD0C60056, 0x00000A80
.long 0xD100002B, 0x015A5309
.long 0xE050D000, 0x8014302B
.long 0xBF8C0F7E
.long 0x02206910
.long 0x81858105
.long 0xBF05CE05
.long 0xBF850186
	;; [unrolled: 10-line block ×15, first 2 shown]
.long 0x02206110
.long 0xBF8C0F7B
	;; [unrolled: 1-line block ×221, first 2 shown]
.long 0x7E5202FF, 0x80000000
.long 0xBED00016
.long 0xBED10017
	;; [unrolled: 1-line block ×4, first 2 shown]
.long 0xE050D000, 0x80141811
.long 0xBE850032
.long 0x81858105
	;; [unrolled: 1-line block ×6, first 2 shown]
.long 0xE050D000, 0x80142C11
.long 0x81858105
.long 0x80505450
.long 0x82515551
.long 0xBF008005
.long 0xBF8501FF
.long 0xE050D000, 0x80143011
.long 0x81858105
.long 0x80505450
.long 0x82515551
.long 0xBF008005
.long 0xBF8501F3
	;; [unrolled: 6-line block ×15, first 2 shown]
.long 0x80505450
.long 0x82515551
.long 0xD0C60056, 0x00000A80
.long 0xD100002B, 0x015A5311
.long 0xE050D000, 0x80142C2B
.long 0xBF8C0F7E
.long 0x02306118
.long 0x81858105
.long 0xBF05CE05
.long 0xBF850193
.long 0x80505450
.long 0x82515551
.long 0xD0C60056, 0x00000A80
.long 0xD100002B, 0x015A5311
.long 0xE050D000, 0x8014302B
.long 0xBF8C0F7E
.long 0x02306918
.long 0x81858105
.long 0xBF05CE05
.long 0xBF850186
	;; [unrolled: 10-line block ×15, first 2 shown]
.long 0x02306118
.long 0xBF8C0F7B
	;; [unrolled: 1-line block ×221, first 2 shown]
.long 0x7E5202FF, 0x80000000
.long 0xBED00016
.long 0xBED10017
.long 0xBED2000E
.long 0xBED3000F
.long 0xE050D000, 0x80142019
.long 0xBE850032
.long 0x81858105
	;; [unrolled: 1-line block ×6, first 2 shown]
.long 0xE050D000, 0x80142C19
.long 0x81858105
.long 0x80505450
.long 0x82515551
.long 0xBF008005
.long 0xBF8501FF
.long 0xE050D000, 0x80143019
.long 0x81858105
.long 0x80505450
.long 0x82515551
.long 0xBF008005
.long 0xBF8501F3
	;; [unrolled: 6-line block ×15, first 2 shown]
.long 0x80505450
.long 0x82515551
.long 0xD0C60056, 0x00000A80
.long 0xD100002B, 0x015A5319
.long 0xE050D000, 0x80142C2B
.long 0xBF8C0F7E
.long 0x02406120
.long 0x81858105
.long 0xBF05CE05
.long 0xBF850193
.long 0x80505450
.long 0x82515551
.long 0xD0C60056, 0x00000A80
.long 0xD100002B, 0x015A5319
.long 0xE050D000, 0x8014302B
.long 0xBF8C0F7E
.long 0x02406920
.long 0x81858105
.long 0xBF05CE05
.long 0xBF850186
	;; [unrolled: 10-line block ×15, first 2 shown]
.long 0x02406120
.long 0xBF8C0F7B
.long 0x02406920
.long 0xBF8C0F7A
.long 0x02407120
.long 0xBF8C0F79
.long 0x02407920
.long 0xBF8C0F78
.long 0x02408120
.long 0xBF8C0F77
.long 0x02408920
.long 0xBF8C0F76
.long 0x02409120
.long 0xBF8C0F75
.long 0x02409920
.long 0xBF8C0F74
.long 0x0240A120
.long 0xBF8C0F73
.long 0x0240A920
.long 0xBF8C0F72
.long 0x0240B120
.long 0xBF8C0F71
.long 0x0240B920
.long 0xBF8C0F70
.long 0x0240C120
.long 0xBF8200C3
.long 0xBF8C0F7C
.long 0x02405920
.long 0xBF8C0F7B
.long 0x02406120
.long 0xBF8C0F7A
.long 0x02406920
.long 0xBF8C0F79
.long 0x02407120
.long 0xBF8C0F78
.long 0x02407920
.long 0xBF8C0F77
.long 0x02408120
.long 0xBF8C0F76
.long 0x02408920
.long 0xBF8C0F75
.long 0x02409120
.long 0xBF8C0F74
.long 0x02409920
.long 0xBF8C0F73
.long 0x0240A120
.long 0xBF8C0F72
.long 0x0240A920
.long 0xBF8C0F71
.long 0x0240B120
.long 0xBF8C0F70
.long 0x0240B920
.long 0xBF8200A8
.long 0xBF8C0F7B
.long 0x02405920
.long 0xBF8C0F7A
.long 0x02406120
.long 0xBF8C0F79
.long 0x02406920
.long 0xBF8C0F78
.long 0x02407120
.long 0xBF8C0F77
.long 0x02407920
.long 0xBF8C0F76
.long 0x02408120
.long 0xBF8C0F75
.long 0x02408920
.long 0xBF8C0F74
.long 0x02409120
.long 0xBF8C0F73
.long 0x02409920
.long 0xBF8C0F72
.long 0x0240A120
.long 0xBF8C0F71
.long 0x0240A920
.long 0xBF8C0F70
.long 0x0240B120
.long 0xBF82008F
.long 0xBF8C0F7A
.long 0x02405920
.long 0xBF8C0F79
.long 0x02406120
.long 0xBF8C0F78
.long 0x02406920
.long 0xBF8C0F77
.long 0x02407120
.long 0xBF8C0F76
.long 0x02407920
.long 0xBF8C0F75
.long 0x02408120
.long 0xBF8C0F74
.long 0x02408920
.long 0xBF8C0F73
.long 0x02409120
.long 0xBF8C0F72
.long 0x02409920
.long 0xBF8C0F71
.long 0x0240A120
.long 0xBF8C0F70
.long 0x0240A920
.long 0xBF820078
.long 0xBF8C0F79
.long 0x02405920
.long 0xBF8C0F78
.long 0x02406120
.long 0xBF8C0F77
.long 0x02406920
.long 0xBF8C0F76
.long 0x02407120
.long 0xBF8C0F75
.long 0x02407920
.long 0xBF8C0F74
.long 0x02408120
.long 0xBF8C0F73
.long 0x02408920
.long 0xBF8C0F72
.long 0x02409120
.long 0xBF8C0F71
.long 0x02409920
.long 0xBF8C0F70
.long 0x0240A120
.long 0xBF820063
.long 0xBF8C0F78
.long 0x02405920
.long 0xBF8C0F77
.long 0x02406120
.long 0xBF8C0F76
.long 0x02406920
.long 0xBF8C0F75
.long 0x02407120
.long 0xBF8C0F74
.long 0x02407920
.long 0xBF8C0F73
.long 0x02408120
.long 0xBF8C0F72
.long 0x02408920
.long 0xBF8C0F71
.long 0x02409120
.long 0xBF8C0F70
.long 0x02409920
.long 0xBF820050
.long 0xBF8C0F77
.long 0x02405920
.long 0xBF8C0F76
.long 0x02406120
.long 0xBF8C0F75
.long 0x02406920
.long 0xBF8C0F74
.long 0x02407120
.long 0xBF8C0F73
.long 0x02407920
.long 0xBF8C0F72
.long 0x02408120
.long 0xBF8C0F71
.long 0x02408920
.long 0xBF8C0F70
.long 0x02409120
.long 0xBF82003F
.long 0xBF8C0F76
.long 0x02405920
.long 0xBF8C0F75
.long 0x02406120
.long 0xBF8C0F74
.long 0x02406920
.long 0xBF8C0F73
.long 0x02407120
.long 0xBF8C0F72
.long 0x02407920
.long 0xBF8C0F71
.long 0x02408120
.long 0xBF8C0F70
.long 0x02408920
.long 0xBF820030
.long 0xBF8C0F75
.long 0x02405920
.long 0xBF8C0F74
.long 0x02406120
.long 0xBF8C0F73
.long 0x02406920
.long 0xBF8C0F72
.long 0x02407120
.long 0xBF8C0F71
.long 0x02407920
.long 0xBF8C0F70
.long 0x02408120
.long 0xBF820023
.long 0xBF8C0F74
.long 0x02405920
.long 0xBF8C0F73
.long 0x02406120
.long 0xBF8C0F72
.long 0x02406920
.long 0xBF8C0F71
.long 0x02407120
.long 0xBF8C0F70
.long 0x02407920
.long 0xBF820018
.long 0xBF8C0F73
.long 0x02405920
.long 0xBF8C0F72
.long 0x02406120
.long 0xBF8C0F71
.long 0x02406920
.long 0xBF8C0F70
.long 0x02407120
.long 0xBF82000F
.long 0xBF8C0F72
.long 0x02405920
.long 0xBF8C0F71
.long 0x02406120
.long 0xBF8C0F70
.long 0x02406920
.long 0xBF820008
.long 0xBF8C0F71
.long 0x02405920
.long 0xBF8C0F70
.long 0x02406120
.long 0xBF820003
.long 0xBF8C0F70
.long 0x02405920
.long 0xBF820000
.long 0x7E5202FF, 0x80000000
.long 0xBED00016
.long 0xBED10017
	;; [unrolled: 1-line block ×4, first 2 shown]
.long 0xE050D000, 0x80142821
.long 0xBE850032
.long 0x81858105
	;; [unrolled: 1-line block ×6, first 2 shown]
.long 0xE050D000, 0x80142C21
.long 0x81858105
.long 0x80505450
.long 0x82515551
.long 0xBF008005
.long 0xBF8501FF
.long 0xE050D000, 0x80143021
.long 0x81858105
.long 0x80505450
.long 0x82515551
.long 0xBF008005
.long 0xBF8501F3
.long 0xE050D000, 0x80143421
.long 0x81858105
.long 0x80505450
.long 0x82515551
.long 0xBF008005
.long 0xBF8501E5
.long 0xE050D000, 0x80143821
.long 0x81858105
.long 0x80505450
.long 0x82515551
.long 0xBF008005
.long 0xBF8501D5
.long 0xE050D000, 0x80143C21
.long 0x81858105
.long 0x80505450
.long 0x82515551
.long 0xBF008005
.long 0xBF8501C3
.long 0xE050D000, 0x80144021
.long 0x81858105
.long 0x80505450
.long 0x82515551
.long 0xBF008005
.long 0xBF8501AF
.long 0xE050D000, 0x80144421
.long 0x81858105
.long 0x80505450
.long 0x82515551
.long 0xBF008005
.long 0xBF850199
.long 0xE050D000, 0x80144821
.long 0x81858105
.long 0x80505450
.long 0x82515551
.long 0xBF008005
.long 0xBF850181
.long 0xE050D000, 0x80144C21
.long 0x81858105
.long 0x80505450
.long 0x82515551
.long 0xBF008005
.long 0xBF850167
.long 0xE050D000, 0x80145021
.long 0x81858105
.long 0x80505450
.long 0x82515551
.long 0xBF008005
.long 0xBF85014B
.long 0xE050D000, 0x80145421
.long 0x81858105
.long 0x80505450
.long 0x82515551
.long 0xBF008005
.long 0xBF85012D
.long 0xE050D000, 0x80145821
.long 0x81858105
.long 0x80505450
.long 0x82515551
.long 0xBF008005
.long 0xBF85010D
.long 0xE050D000, 0x80145C21
.long 0x81858105
.long 0x80505450
.long 0x82515551
.long 0xBF008005
.long 0xBF8500EB
.long 0xE050D000, 0x80146021
.long 0x81858105
.long 0x80505450
.long 0x82515551
.long 0xBF008005
.long 0xBF8500C7
.long 0xE050D000, 0x80146421
.long 0xBF8C0F7E
.long 0x02505928
.long 0x81858105
.long 0xBF05CE05
.long 0xBF8501A0
.long 0x80505450
.long 0x82515551
.long 0xD0C60056, 0x00000A80
.long 0xD100002B, 0x015A5321
.long 0xE050D000, 0x80142C2B
.long 0xBF8C0F7E
.long 0x02506128
.long 0x81858105
.long 0xBF05CE05
.long 0xBF850193
.long 0x80505450
.long 0x82515551
.long 0xD0C60056, 0x00000A80
.long 0xD100002B, 0x015A5321
.long 0xE050D000, 0x8014302B
.long 0xBF8C0F7E
.long 0x02506928
.long 0x81858105
.long 0xBF05CE05
.long 0xBF850186
	;; [unrolled: 10-line block ×15, first 2 shown]
.long 0x02506128
.long 0xBF8C0F7B
	;; [unrolled: 1-line block ×244, first 2 shown]
.long 0xE070D000, 0x80031009
.long 0xE070D000, 0x80031811
	;; [unrolled: 1-line block ×4, first 2 shown]
.long 0xBF800000
.long 0x80538309
	;; [unrolled: 1-line block ×19, first 2 shown]
.long 0xC2330CCC, 0x00000000
.long 0x9651811C
.long 0x9250811C
	;; [unrolled: 1-line block ×17, first 2 shown]
.long 0x7E5202FF, 0x80000000
.long 0xBED00016
.long 0xBED10017
	;; [unrolled: 1-line block ×9, first 2 shown]
.long 0xE050D000, 0x80141009
.long 0xBE850032
.long 0x81858105
	;; [unrolled: 1-line block ×6, first 2 shown]
.long 0xE050D000, 0x80142C09
.long 0x81858105
.long 0x80505450
.long 0x82515551
.long 0xBF008005
.long 0xBF8501FF
.long 0xE050D000, 0x80143009
.long 0x81858105
.long 0x80505450
.long 0x82515551
.long 0xBF008005
.long 0xBF8501F3
	;; [unrolled: 6-line block ×15, first 2 shown]
.long 0x80505450
.long 0x82515551
.long 0xD0C60056, 0x00000A80
.long 0xD100002B, 0x015A5309
.long 0xE050D000, 0x80142C2B
.long 0xBF8C0F7E
.long 0x02206110
.long 0x81858105
.long 0xBF05CE05
.long 0xBF850193
.long 0x80505450
.long 0x82515551
.long 0xD0C60056, 0x00000A80
.long 0xD100002B, 0x015A5309
.long 0xE050D000, 0x8014302B
.long 0xBF8C0F7E
.long 0x02206910
.long 0x81858105
.long 0xBF05CE05
.long 0xBF850186
	;; [unrolled: 10-line block ×15, first 2 shown]
.long 0x02206110
.long 0xBF8C0F7B
.long 0x02206910
.long 0xBF8C0F7A
.long 0x02207110
.long 0xBF8C0F79
.long 0x02207910
.long 0xBF8C0F78
.long 0x02208110
.long 0xBF8C0F77
.long 0x02208910
.long 0xBF8C0F76
.long 0x02209110
.long 0xBF8C0F75
.long 0x02209910
.long 0xBF8C0F74
.long 0x0220A110
.long 0xBF8C0F73
.long 0x0220A910
.long 0xBF8C0F72
.long 0x0220B110
.long 0xBF8C0F71
.long 0x0220B910
.long 0xBF8C0F70
.long 0x0220C110
.long 0xBF8200C3
.long 0xBF8C0F7C
.long 0x02205910
.long 0xBF8C0F7B
.long 0x02206110
.long 0xBF8C0F7A
.long 0x02206910
.long 0xBF8C0F79
.long 0x02207110
.long 0xBF8C0F78
.long 0x02207910
.long 0xBF8C0F77
.long 0x02208110
.long 0xBF8C0F76
.long 0x02208910
.long 0xBF8C0F75
.long 0x02209110
.long 0xBF8C0F74
.long 0x02209910
.long 0xBF8C0F73
.long 0x0220A110
.long 0xBF8C0F72
.long 0x0220A910
.long 0xBF8C0F71
.long 0x0220B110
.long 0xBF8C0F70
.long 0x0220B910
.long 0xBF8200A8
.long 0xBF8C0F7B
.long 0x02205910
.long 0xBF8C0F7A
.long 0x02206110
.long 0xBF8C0F79
.long 0x02206910
.long 0xBF8C0F78
.long 0x02207110
.long 0xBF8C0F77
.long 0x02207910
.long 0xBF8C0F76
.long 0x02208110
.long 0xBF8C0F75
.long 0x02208910
.long 0xBF8C0F74
.long 0x02209110
.long 0xBF8C0F73
.long 0x02209910
.long 0xBF8C0F72
.long 0x0220A110
.long 0xBF8C0F71
.long 0x0220A910
.long 0xBF8C0F70
.long 0x0220B110
.long 0xBF82008F
.long 0xBF8C0F7A
.long 0x02205910
.long 0xBF8C0F79
.long 0x02206110
.long 0xBF8C0F78
.long 0x02206910
.long 0xBF8C0F77
.long 0x02207110
.long 0xBF8C0F76
.long 0x02207910
.long 0xBF8C0F75
.long 0x02208110
.long 0xBF8C0F74
.long 0x02208910
.long 0xBF8C0F73
.long 0x02209110
.long 0xBF8C0F72
.long 0x02209910
.long 0xBF8C0F71
.long 0x0220A110
.long 0xBF8C0F70
.long 0x0220A910
.long 0xBF820078
.long 0xBF8C0F79
.long 0x02205910
.long 0xBF8C0F78
.long 0x02206110
.long 0xBF8C0F77
.long 0x02206910
.long 0xBF8C0F76
.long 0x02207110
.long 0xBF8C0F75
.long 0x02207910
.long 0xBF8C0F74
.long 0x02208110
.long 0xBF8C0F73
.long 0x02208910
.long 0xBF8C0F72
.long 0x02209110
.long 0xBF8C0F71
.long 0x02209910
.long 0xBF8C0F70
.long 0x0220A110
.long 0xBF820063
.long 0xBF8C0F78
.long 0x02205910
.long 0xBF8C0F77
.long 0x02206110
.long 0xBF8C0F76
.long 0x02206910
.long 0xBF8C0F75
.long 0x02207110
.long 0xBF8C0F74
.long 0x02207910
.long 0xBF8C0F73
.long 0x02208110
.long 0xBF8C0F72
.long 0x02208910
.long 0xBF8C0F71
.long 0x02209110
.long 0xBF8C0F70
.long 0x02209910
.long 0xBF820050
.long 0xBF8C0F77
.long 0x02205910
.long 0xBF8C0F76
.long 0x02206110
.long 0xBF8C0F75
.long 0x02206910
.long 0xBF8C0F74
.long 0x02207110
.long 0xBF8C0F73
.long 0x02207910
.long 0xBF8C0F72
.long 0x02208110
.long 0xBF8C0F71
.long 0x02208910
.long 0xBF8C0F70
.long 0x02209110
.long 0xBF82003F
.long 0xBF8C0F76
.long 0x02205910
.long 0xBF8C0F75
.long 0x02206110
.long 0xBF8C0F74
.long 0x02206910
.long 0xBF8C0F73
.long 0x02207110
.long 0xBF8C0F72
.long 0x02207910
.long 0xBF8C0F71
.long 0x02208110
.long 0xBF8C0F70
.long 0x02208910
.long 0xBF820030
.long 0xBF8C0F75
.long 0x02205910
.long 0xBF8C0F74
.long 0x02206110
.long 0xBF8C0F73
.long 0x02206910
.long 0xBF8C0F72
.long 0x02207110
.long 0xBF8C0F71
.long 0x02207910
.long 0xBF8C0F70
.long 0x02208110
.long 0xBF820023
.long 0xBF8C0F74
.long 0x02205910
.long 0xBF8C0F73
.long 0x02206110
.long 0xBF8C0F72
.long 0x02206910
.long 0xBF8C0F71
.long 0x02207110
.long 0xBF8C0F70
.long 0x02207910
.long 0xBF820018
.long 0xBF8C0F73
.long 0x02205910
.long 0xBF8C0F72
.long 0x02206110
.long 0xBF8C0F71
.long 0x02206910
.long 0xBF8C0F70
.long 0x02207110
.long 0xBF82000F
.long 0xBF8C0F72
.long 0x02205910
.long 0xBF8C0F71
.long 0x02206110
.long 0xBF8C0F70
.long 0x02206910
.long 0xBF820008
.long 0xBF8C0F71
.long 0x02205910
.long 0xBF8C0F70
.long 0x02206110
.long 0xBF820003
.long 0xBF8C0F70
.long 0x02205910
.long 0xBF820000
.long 0x7E5202FF, 0x80000000
.long 0xBED00016
.long 0xBED10017
	;; [unrolled: 1-line block ×4, first 2 shown]
.long 0xE050D000, 0x80141811
.long 0xBE850032
.long 0x81858105
.long 0x80505450
.long 0x82515551
.long 0xBF008005
.long 0xBF850209
.long 0xE050D000, 0x80142C11
.long 0x81858105
.long 0x80505450
.long 0x82515551
.long 0xBF008005
.long 0xBF8501FF
.long 0xE050D000, 0x80143011
.long 0x81858105
.long 0x80505450
.long 0x82515551
.long 0xBF008005
.long 0xBF8501F3
	;; [unrolled: 6-line block ×15, first 2 shown]
.long 0x80505450
.long 0x82515551
.long 0xD0C60056, 0x00000A80
.long 0xD100002B, 0x015A5311
.long 0xE050D000, 0x80142C2B
.long 0xBF8C0F7E
.long 0x02306118
.long 0x81858105
.long 0xBF05CE05
.long 0xBF850193
.long 0x80505450
.long 0x82515551
.long 0xD0C60056, 0x00000A80
.long 0xD100002B, 0x015A5311
.long 0xE050D000, 0x8014302B
.long 0xBF8C0F7E
.long 0x02306918
.long 0x81858105
.long 0xBF05CE05
.long 0xBF850186
	;; [unrolled: 10-line block ×15, first 2 shown]
.long 0x02306118
.long 0xBF8C0F7B
.long 0x02306918
.long 0xBF8C0F7A
.long 0x02307118
.long 0xBF8C0F79
.long 0x02307918
.long 0xBF8C0F78
.long 0x02308118
.long 0xBF8C0F77
.long 0x02308918
.long 0xBF8C0F76
.long 0x02309118
.long 0xBF8C0F75
.long 0x02309918
.long 0xBF8C0F74
.long 0x0230A118
.long 0xBF8C0F73
.long 0x0230A918
.long 0xBF8C0F72
.long 0x0230B118
.long 0xBF8C0F71
.long 0x0230B918
.long 0xBF8C0F70
.long 0x0230C118
.long 0xBF8200C3
.long 0xBF8C0F7C
.long 0x02305918
.long 0xBF8C0F7B
.long 0x02306118
.long 0xBF8C0F7A
.long 0x02306918
.long 0xBF8C0F79
.long 0x02307118
.long 0xBF8C0F78
.long 0x02307918
.long 0xBF8C0F77
.long 0x02308118
.long 0xBF8C0F76
.long 0x02308918
.long 0xBF8C0F75
.long 0x02309118
.long 0xBF8C0F74
.long 0x02309918
.long 0xBF8C0F73
.long 0x0230A118
.long 0xBF8C0F72
.long 0x0230A918
.long 0xBF8C0F71
.long 0x0230B118
.long 0xBF8C0F70
.long 0x0230B918
.long 0xBF8200A8
.long 0xBF8C0F7B
.long 0x02305918
.long 0xBF8C0F7A
.long 0x02306118
.long 0xBF8C0F79
.long 0x02306918
.long 0xBF8C0F78
.long 0x02307118
.long 0xBF8C0F77
.long 0x02307918
.long 0xBF8C0F76
.long 0x02308118
.long 0xBF8C0F75
.long 0x02308918
.long 0xBF8C0F74
.long 0x02309118
.long 0xBF8C0F73
.long 0x02309918
.long 0xBF8C0F72
.long 0x0230A118
.long 0xBF8C0F71
.long 0x0230A918
.long 0xBF8C0F70
.long 0x0230B118
.long 0xBF82008F
.long 0xBF8C0F7A
.long 0x02305918
.long 0xBF8C0F79
.long 0x02306118
.long 0xBF8C0F78
.long 0x02306918
.long 0xBF8C0F77
.long 0x02307118
.long 0xBF8C0F76
.long 0x02307918
.long 0xBF8C0F75
.long 0x02308118
.long 0xBF8C0F74
.long 0x02308918
.long 0xBF8C0F73
.long 0x02309118
.long 0xBF8C0F72
.long 0x02309918
.long 0xBF8C0F71
.long 0x0230A118
.long 0xBF8C0F70
.long 0x0230A918
.long 0xBF820078
.long 0xBF8C0F79
.long 0x02305918
.long 0xBF8C0F78
.long 0x02306118
.long 0xBF8C0F77
.long 0x02306918
.long 0xBF8C0F76
.long 0x02307118
.long 0xBF8C0F75
.long 0x02307918
.long 0xBF8C0F74
.long 0x02308118
.long 0xBF8C0F73
.long 0x02308918
.long 0xBF8C0F72
.long 0x02309118
.long 0xBF8C0F71
.long 0x02309918
.long 0xBF8C0F70
.long 0x0230A118
.long 0xBF820063
.long 0xBF8C0F78
.long 0x02305918
.long 0xBF8C0F77
.long 0x02306118
.long 0xBF8C0F76
.long 0x02306918
.long 0xBF8C0F75
.long 0x02307118
.long 0xBF8C0F74
.long 0x02307918
.long 0xBF8C0F73
.long 0x02308118
.long 0xBF8C0F72
.long 0x02308918
.long 0xBF8C0F71
.long 0x02309118
.long 0xBF8C0F70
.long 0x02309918
.long 0xBF820050
.long 0xBF8C0F77
.long 0x02305918
.long 0xBF8C0F76
.long 0x02306118
.long 0xBF8C0F75
.long 0x02306918
.long 0xBF8C0F74
.long 0x02307118
.long 0xBF8C0F73
.long 0x02307918
.long 0xBF8C0F72
.long 0x02308118
.long 0xBF8C0F71
.long 0x02308918
.long 0xBF8C0F70
.long 0x02309118
.long 0xBF82003F
.long 0xBF8C0F76
.long 0x02305918
.long 0xBF8C0F75
.long 0x02306118
.long 0xBF8C0F74
.long 0x02306918
.long 0xBF8C0F73
.long 0x02307118
.long 0xBF8C0F72
.long 0x02307918
.long 0xBF8C0F71
.long 0x02308118
.long 0xBF8C0F70
.long 0x02308918
.long 0xBF820030
.long 0xBF8C0F75
.long 0x02305918
.long 0xBF8C0F74
.long 0x02306118
.long 0xBF8C0F73
.long 0x02306918
.long 0xBF8C0F72
.long 0x02307118
.long 0xBF8C0F71
.long 0x02307918
.long 0xBF8C0F70
.long 0x02308118
.long 0xBF820023
.long 0xBF8C0F74
.long 0x02305918
.long 0xBF8C0F73
.long 0x02306118
.long 0xBF8C0F72
.long 0x02306918
.long 0xBF8C0F71
.long 0x02307118
.long 0xBF8C0F70
.long 0x02307918
.long 0xBF820018
.long 0xBF8C0F73
.long 0x02305918
.long 0xBF8C0F72
.long 0x02306118
.long 0xBF8C0F71
.long 0x02306918
.long 0xBF8C0F70
.long 0x02307118
.long 0xBF82000F
.long 0xBF8C0F72
.long 0x02305918
.long 0xBF8C0F71
.long 0x02306118
.long 0xBF8C0F70
.long 0x02306918
.long 0xBF820008
.long 0xBF8C0F71
.long 0x02305918
.long 0xBF8C0F70
.long 0x02306118
.long 0xBF820003
.long 0xBF8C0F70
.long 0x02305918
.long 0xBF820000
.long 0x7E5202FF, 0x80000000
.long 0xBED00016
.long 0xBED10017
	;; [unrolled: 1-line block ×4, first 2 shown]
.long 0xE050D000, 0x80142019
.long 0xBE850032
.long 0x81858105
	;; [unrolled: 1-line block ×6, first 2 shown]
.long 0xE050D000, 0x80142C19
.long 0x81858105
.long 0x80505450
.long 0x82515551
.long 0xBF008005
.long 0xBF8501FF
.long 0xE050D000, 0x80143019
.long 0x81858105
.long 0x80505450
.long 0x82515551
.long 0xBF008005
.long 0xBF8501F3
	;; [unrolled: 6-line block ×15, first 2 shown]
.long 0x80505450
.long 0x82515551
.long 0xD0C60056, 0x00000A80
.long 0xD100002B, 0x015A5319
.long 0xE050D000, 0x80142C2B
.long 0xBF8C0F7E
.long 0x02406120
.long 0x81858105
.long 0xBF05CE05
.long 0xBF850193
.long 0x80505450
.long 0x82515551
.long 0xD0C60056, 0x00000A80
.long 0xD100002B, 0x015A5319
.long 0xE050D000, 0x8014302B
.long 0xBF8C0F7E
.long 0x02406920
.long 0x81858105
.long 0xBF05CE05
.long 0xBF850186
	;; [unrolled: 10-line block ×15, first 2 shown]
.long 0x02406120
.long 0xBF8C0F7B
.long 0x02406920
.long 0xBF8C0F7A
.long 0x02407120
.long 0xBF8C0F79
.long 0x02407920
.long 0xBF8C0F78
.long 0x02408120
.long 0xBF8C0F77
.long 0x02408920
.long 0xBF8C0F76
.long 0x02409120
.long 0xBF8C0F75
.long 0x02409920
.long 0xBF8C0F74
.long 0x0240A120
.long 0xBF8C0F73
.long 0x0240A920
.long 0xBF8C0F72
.long 0x0240B120
.long 0xBF8C0F71
.long 0x0240B920
.long 0xBF8C0F70
.long 0x0240C120
.long 0xBF8200C3
.long 0xBF8C0F7C
.long 0x02405920
.long 0xBF8C0F7B
.long 0x02406120
.long 0xBF8C0F7A
.long 0x02406920
.long 0xBF8C0F79
.long 0x02407120
.long 0xBF8C0F78
.long 0x02407920
.long 0xBF8C0F77
.long 0x02408120
.long 0xBF8C0F76
.long 0x02408920
.long 0xBF8C0F75
.long 0x02409120
.long 0xBF8C0F74
.long 0x02409920
.long 0xBF8C0F73
.long 0x0240A120
.long 0xBF8C0F72
.long 0x0240A920
.long 0xBF8C0F71
.long 0x0240B120
.long 0xBF8C0F70
.long 0x0240B920
.long 0xBF8200A8
.long 0xBF8C0F7B
.long 0x02405920
.long 0xBF8C0F7A
.long 0x02406120
.long 0xBF8C0F79
.long 0x02406920
.long 0xBF8C0F78
.long 0x02407120
.long 0xBF8C0F77
.long 0x02407920
.long 0xBF8C0F76
.long 0x02408120
.long 0xBF8C0F75
.long 0x02408920
.long 0xBF8C0F74
.long 0x02409120
.long 0xBF8C0F73
.long 0x02409920
.long 0xBF8C0F72
.long 0x0240A120
.long 0xBF8C0F71
.long 0x0240A920
.long 0xBF8C0F70
.long 0x0240B120
.long 0xBF82008F
.long 0xBF8C0F7A
.long 0x02405920
.long 0xBF8C0F79
.long 0x02406120
.long 0xBF8C0F78
.long 0x02406920
.long 0xBF8C0F77
.long 0x02407120
.long 0xBF8C0F76
.long 0x02407920
.long 0xBF8C0F75
.long 0x02408120
.long 0xBF8C0F74
.long 0x02408920
.long 0xBF8C0F73
.long 0x02409120
.long 0xBF8C0F72
.long 0x02409920
.long 0xBF8C0F71
.long 0x0240A120
.long 0xBF8C0F70
.long 0x0240A920
.long 0xBF820078
.long 0xBF8C0F79
.long 0x02405920
.long 0xBF8C0F78
.long 0x02406120
.long 0xBF8C0F77
.long 0x02406920
.long 0xBF8C0F76
.long 0x02407120
.long 0xBF8C0F75
.long 0x02407920
.long 0xBF8C0F74
.long 0x02408120
.long 0xBF8C0F73
.long 0x02408920
.long 0xBF8C0F72
.long 0x02409120
.long 0xBF8C0F71
.long 0x02409920
.long 0xBF8C0F70
.long 0x0240A120
.long 0xBF820063
.long 0xBF8C0F78
.long 0x02405920
.long 0xBF8C0F77
.long 0x02406120
.long 0xBF8C0F76
.long 0x02406920
.long 0xBF8C0F75
.long 0x02407120
.long 0xBF8C0F74
.long 0x02407920
.long 0xBF8C0F73
.long 0x02408120
.long 0xBF8C0F72
.long 0x02408920
.long 0xBF8C0F71
.long 0x02409120
.long 0xBF8C0F70
.long 0x02409920
.long 0xBF820050
.long 0xBF8C0F77
.long 0x02405920
.long 0xBF8C0F76
.long 0x02406120
.long 0xBF8C0F75
.long 0x02406920
.long 0xBF8C0F74
.long 0x02407120
.long 0xBF8C0F73
.long 0x02407920
.long 0xBF8C0F72
.long 0x02408120
.long 0xBF8C0F71
.long 0x02408920
.long 0xBF8C0F70
.long 0x02409120
.long 0xBF82003F
.long 0xBF8C0F76
.long 0x02405920
.long 0xBF8C0F75
.long 0x02406120
.long 0xBF8C0F74
.long 0x02406920
.long 0xBF8C0F73
.long 0x02407120
.long 0xBF8C0F72
.long 0x02407920
.long 0xBF8C0F71
.long 0x02408120
.long 0xBF8C0F70
.long 0x02408920
.long 0xBF820030
.long 0xBF8C0F75
.long 0x02405920
.long 0xBF8C0F74
.long 0x02406120
.long 0xBF8C0F73
.long 0x02406920
.long 0xBF8C0F72
.long 0x02407120
.long 0xBF8C0F71
.long 0x02407920
.long 0xBF8C0F70
.long 0x02408120
.long 0xBF820023
.long 0xBF8C0F74
.long 0x02405920
.long 0xBF8C0F73
.long 0x02406120
.long 0xBF8C0F72
.long 0x02406920
.long 0xBF8C0F71
.long 0x02407120
.long 0xBF8C0F70
.long 0x02407920
.long 0xBF820018
.long 0xBF8C0F73
.long 0x02405920
.long 0xBF8C0F72
.long 0x02406120
.long 0xBF8C0F71
.long 0x02406920
.long 0xBF8C0F70
.long 0x02407120
.long 0xBF82000F
.long 0xBF8C0F72
.long 0x02405920
.long 0xBF8C0F71
.long 0x02406120
.long 0xBF8C0F70
.long 0x02406920
.long 0xBF820008
.long 0xBF8C0F71
.long 0x02405920
.long 0xBF8C0F70
.long 0x02406120
.long 0xBF820003
.long 0xBF8C0F70
.long 0x02405920
.long 0xBF820000
.long 0x7E5202FF, 0x80000000
.long 0xBED00016
.long 0xBED10017
	;; [unrolled: 1-line block ×4, first 2 shown]
.long 0xE050D000, 0x80142821
.long 0xBE850032
.long 0x81858105
	;; [unrolled: 1-line block ×6, first 2 shown]
.long 0xE050D000, 0x80142C21
.long 0x81858105
.long 0x80505450
.long 0x82515551
.long 0xBF008005
.long 0xBF8501FF
.long 0xE050D000, 0x80143021
.long 0x81858105
.long 0x80505450
.long 0x82515551
.long 0xBF008005
.long 0xBF8501F3
	;; [unrolled: 6-line block ×15, first 2 shown]
.long 0x80505450
.long 0x82515551
.long 0xD0C60056, 0x00000A80
.long 0xD100002B, 0x015A5321
.long 0xE050D000, 0x80142C2B
.long 0xBF8C0F7E
.long 0x02506128
.long 0x81858105
.long 0xBF05CE05
.long 0xBF850193
.long 0x80505450
.long 0x82515551
.long 0xD0C60056, 0x00000A80
.long 0xD100002B, 0x015A5321
.long 0xE050D000, 0x8014302B
.long 0xBF8C0F7E
.long 0x02506928
.long 0x81858105
.long 0xBF05CE05
.long 0xBF850186
	;; [unrolled: 10-line block ×15, first 2 shown]
.long 0x02506128
.long 0xBF8C0F7B
	;; [unrolled: 1-line block ×226, first 2 shown]
.long 0xD0CC0034, 0x0001002E
.long 0xD100000F, 0x00D21EF2
.long 0x0A20210F
.long 0xD13B0010, 0x0000630D
.long 0x0208210E
.long 0xBEC81E3E
.long 0x7E200304
.long 0xE070D000, 0x8011100A
.long 0xBF800000
.long 0xD0CC0034, 0x0001002E
.long 0xD1000017, 0x00D22EF2
.long 0x0A303117
.long 0xD13B0018, 0x00006315
.long 0x02083116
.long 0xBEC81E3E
.long 0x7E300304
.long 0xE070D000, 0x80111812
.long 0xBF800000
	;; [unrolled: 9-line block ×4, first 2 shown]
.long 0xBF800000
.long 0xBF820000
	;; [unrolled: 1-line block ×3, first 2 shown]
.long 0x814A84FF, 0x00000CF0
.long 0x80484A48
.long 0x82498049
	;; [unrolled: 1-line block ×5, first 2 shown]
.long 0xBEAF00FF, 0x00020000
.long 0xBF128034
.long 0xBF840002
.long 0xBEAE0080
.long 0xBF820001
.long 0xBEAE001C
.long 0x922E2E84
.long 0x80338104
.long 0x92333339
.long 0xBF068033
.long 0x8533331C
.long 0xBEC00036
.long 0xBEC10037
.long 0xBEC300FF, 0x00020000
.long 0xBF128036
.long 0xBF840002
	;; [unrolled: 1-line block ×13, first 2 shown]
.long 0xE0501000, 0x80100408
.long 0x24105482
.long 0xBF8C0F70
	;; [unrolled: 1-line block ×3, first 2 shown]
.long 0xD81A0000, 0x00000408
.long 0xBF820011
.long 0xB4B80004
	;; [unrolled: 1-line block ×9, first 2 shown]
.long 0xE0901000, 0x80100408
.long 0x24105482
.long 0xBF8C0F70
	;; [unrolled: 1-line block ×4, first 2 shown]
.long 0xD81A0000, 0x00000408
.long 0xBF820000
.long 0xB4310000
	;; [unrolled: 1-line block ×32, first 2 shown]
.long 0x813384FF, 0x00000B84
.long 0x803E333E
.long 0x823F803F
.long 0xBF820030
.long 0xBEBE1C00
.long 0x813384FF, 0x00000B70
.long 0x803E333E
.long 0x823F803F
.long 0xBF82002A
.long 0xBEBE1C00
	;; [unrolled: 5-line block ×9, first 2 shown]
.long 0xD135000B, 0x00009500
.long 0x24161682
.long 0xBF8CC07F
	;; [unrolled: 1-line block ×3, first 2 shown]
.long 0xD9FE0000, 0x1000000B
.long 0x24180082
.long 0xE05C1000, 0x800B140C
.long 0xD1FE0009, 0x020A0103
.long 0xD3D84018, 0x18000100
.long 0xD3D84019, 0x18000101
.long 0xD3D8401A, 0x18000102
.long 0xD3D8401B, 0x18000103
.long 0xBF800001
.long 0xBF800000
	;; [unrolled: 1-line block ×7, first 2 shown]
.long 0xD0CC0034, 0x0001002E
.long 0xD1000014, 0x00D228F2
	;; [unrolled: 1-line block ×10, first 2 shown]
.long 0xBEC81E3E
.long 0x7E300304
	;; [unrolled: 1-line block ×5, first 2 shown]
.long 0xE07CD000, 0x80031809
.long 0xBF800000
.long 0xBF800000
	;; [unrolled: 1-line block ×20, first 2 shown]
.long 0x813384FF, 0x00000D98
.long 0x803E333E
.long 0x823F803F
.long 0xBF820030
.long 0xBEBE1C00
.long 0x813384FF, 0x00000D84
.long 0x803E333E
.long 0x823F803F
.long 0xBF82002A
.long 0xBEBE1C00
	;; [unrolled: 5-line block ×8, first 2 shown]
.long 0x813384FF, 0x00000DB0
.long 0x803E333E
.long 0x823F803F
	;; [unrolled: 1-line block ×3, first 2 shown]
.long 0x7E4202FF, 0x80000000
.long 0xD0C9004A, 0x00003900
.long 0xD0C9004E, 0x00003B01
.long 0x86CE4E4A
.long 0x924A02C0
.long 0xD135000A, 0x00009500
.long 0x24141482
.long 0xD100000A, 0x013A1521
.long 0xBF8CC07F
.long 0xBF8A0000
.long 0xD86C0000, 0x0C00000A
.long 0x24160082
.long 0xE0501000, 0x800B0D0B
.long 0xD1FE0009, 0x020A0103
.long 0xD1000009, 0x013A1321
.long 0xD1196A04, 0x00010300
.long 0xD0C9004A, 0x00003904
.long 0xD0C9004E, 0x00003B01
.long 0x86CE4E4A
.long 0x924A02C0
.long 0xD1350010, 0x00009504
.long 0x24202082
.long 0xD1000010, 0x013A2121
.long 0xD86C0000, 0x12000010
.long 0x24220882
.long 0xE0501000, 0x800B1311
.long 0xD1FE000F, 0x020A0903
.long 0xD100000F, 0x013A1F21
.long 0xD1196A04, 0x00010500
.long 0xD0C9004A, 0x00003904
.long 0xD0C9004E, 0x00003B01
.long 0x86CE4E4A
.long 0x924A02C0
.long 0xD1350016, 0x00009504
.long 0x242C2C82
.long 0xD1000016, 0x013A2D21
	;; [unrolled: 13-line block ×3, first 2 shown]
.long 0xD86C0000, 0x1E00001C
.long 0x243A0882
.long 0xE0501000, 0x800B1F1D
.long 0xD1FE001B, 0x020A0903
	;; [unrolled: 1-line block ×7, first 2 shown]
.long 0xBF800001
.long 0xBF800000
	;; [unrolled: 1-line block ×7, first 2 shown]
.long 0xD0CC0034, 0x0001002E
.long 0xD100000D, 0x00D21AF2
.long 0x0A1C1D0D
.long 0x02081D0C
.long 0xBEC81E3E
.long 0x7E1C0304
.long 0xE070D000, 0x80030E09
.long 0xBF800000
.long 0xD0CC0034, 0x0001002E
.long 0xD1000013, 0x00D226F2
.long 0x0A282913
.long 0x02082912
.long 0xBEC81E3E
.long 0x7E280304
.long 0xE070D000, 0x8003140F
.long 0xBF800000
	;; [unrolled: 8-line block ×4, first 2 shown]
.long 0xBF800000
.long 0xBF820195
	;; [unrolled: 1-line block ×31, first 2 shown]
.long 0x813384FF, 0x000005E0
.long 0x803E333E
.long 0x823F803F
.long 0xBF820030
.long 0xBEBE1C00
.long 0x813384FF, 0x000005CC
.long 0x803E333E
.long 0x823F803F
.long 0xBF82002A
.long 0xBEBE1C00
	;; [unrolled: 5-line block ×8, first 2 shown]
.long 0x813384FF, 0x00000820
.long 0x803E333E
.long 0x823F803F
	;; [unrolled: 1-line block ×3, first 2 shown]
.long 0xD1FE000A, 0x020A0102
.long 0xE05C1000, 0x8004100A
.long 0x924A02C0
.long 0xD135000B, 0x00009500
.long 0x24161682
.long 0xBF8CC07F
	;; [unrolled: 1-line block ×3, first 2 shown]
.long 0xD9FE0000, 0x1400000B
.long 0x24180082
.long 0xE05C1000, 0x800B180C
.long 0xD1FE0009, 0x020A0103
	;; [unrolled: 1-line block ×6, first 2 shown]
.long 0xBF800001
.long 0xBF800000
	;; [unrolled: 1-line block ×7, first 2 shown]
.long 0xD0CC0034, 0x0001002E
.long 0xD1000018, 0x00D230F2
.long 0xD1000019, 0x00D232F2
.long 0xD3B1401C, 0x18023918
.long 0xD0CC0034, 0x0001002E
.long 0xD100001A, 0x00D234F2
.long 0xD100001B, 0x00D236F2
.long 0xD3B1401E, 0x18023D1A
.long 0xD13B001C, 0x00006310
.long 0xD13B001D, 0x00006311
.long 0xD13B001E, 0x00006312
.long 0xD13B001F, 0x00006313
.long 0xD3B24004, 0x18023914
.long 0xD3B24006, 0x18023D16
.long 0xBEC81E3E
.long 0x7E380304
	;; [unrolled: 1-line block ×5, first 2 shown]
.long 0xE07CD000, 0x80031C09
.long 0xBF800000
.long 0xBF800000
	;; [unrolled: 1-line block ×20, first 2 shown]
.long 0x813384FF, 0x000007C4
.long 0x803E333E
.long 0x823F803F
.long 0xBF820030
.long 0xBEBE1C00
.long 0x813384FF, 0x000007B0
.long 0x803E333E
.long 0x823F803F
.long 0xBF82002A
.long 0xBEBE1C00
	;; [unrolled: 5-line block ×8, first 2 shown]
.long 0x813384FF, 0x000007DC
.long 0x803E333E
.long 0x823F803F
	;; [unrolled: 1-line block ×3, first 2 shown]
.long 0x7E4A02FF, 0x80000000
.long 0xD0C9004A, 0x00003900
	;; [unrolled: 1-line block ×3, first 2 shown]
.long 0x86CE4E4A
.long 0xD1FE0009, 0x020A0102
.long 0xD1000009, 0x013A1325
	;; [unrolled: 1-line block ×3, first 2 shown]
.long 0x924A02C0
.long 0xD135000A, 0x00009500
.long 0x24141482
.long 0xD100000A, 0x013A1525
.long 0xBF8CC07F
.long 0xBF8A0000
.long 0xD86C0000, 0x0D00000A
.long 0x24160082
.long 0xE0501000, 0x800B0E0B
.long 0xD1FE0009, 0x020A0103
.long 0xD1000009, 0x013A1325
.long 0xD1196A04, 0x00010300
.long 0xD0C9004A, 0x00003904
.long 0xD0C9004E, 0x00003B01
.long 0x86CE4E4A
.long 0xD1FE0010, 0x020A0902
.long 0xD1000010, 0x013A2125
.long 0xE0501000, 0x80041310
.long 0x924A02C0
.long 0xD1350011, 0x00009504
.long 0x24222282
.long 0xD1000011, 0x013A2325
.long 0xD86C0000, 0x14000011
.long 0x24240882
.long 0xE0501000, 0x800B1512
.long 0xD1FE0010, 0x020A0903
.long 0xD1000010, 0x013A2125
.long 0xD1196A04, 0x00010500
.long 0xD0C9004A, 0x00003904
.long 0xD0C9004E, 0x00003B01
.long 0x86CE4E4A
.long 0xD1FE0017, 0x020A0902
.long 0xD1000017, 0x013A2F25
.long 0xE0501000, 0x80041A17
.long 0x924A02C0
.long 0xD1350018, 0x00009504
.long 0x24303082
.long 0xD1000018, 0x013A3125
	;; [unrolled: 16-line block ×3, first 2 shown]
.long 0xD86C0000, 0x2200001F
.long 0x24400882
.long 0xE0501000, 0x800B2320
.long 0xD1FE001E, 0x020A0903
	;; [unrolled: 1-line block ×7, first 2 shown]
.long 0xBF800001
.long 0xBF800000
	;; [unrolled: 1-line block ×7, first 2 shown]
.long 0xD0CC0034, 0x0001002E
.long 0xD100000E, 0x00D21CF2
.long 0x0A1E1F0E
.long 0xD13B000F, 0x0000630C
.long 0x02081F0D
.long 0xBEC81E3E
.long 0x7E1E0304
.long 0xE070D000, 0x80030F09
.long 0xBF800000
.long 0xD0CC0034, 0x0001002E
.long 0xD1000015, 0x00D22AF2
.long 0x0A2C2D15
.long 0xD13B0016, 0x00006313
.long 0x02082D14
.long 0xBEC81E3E
.long 0x7E2C0304
.long 0xE070D000, 0x80031610
.long 0xBF800000
	;; [unrolled: 9-line block ×4, first 2 shown]
.long 0xBF800000
.long 0xBF820000
	;; [unrolled: 1-line block ×4, first 2 shown]
.long 0x260808FF, 0x7FFFFFFF
.long 0x260A0AFF, 0x7FFFFFFF
	;; [unrolled: 1-line block ×4, first 2 shown]
.long 0xBE801D48
.long 0xD044006A, 0x00007504
.long 0x1408083B
.long 0x00080880
.long 0xD044006A, 0x00007505
.long 0x140A0A3B
	;; [unrolled: 3-line block ×4, first 2 shown]
.long 0x000E0E80
.long 0xBE801D48
.long 0x0A1008FF, 0x3D372713
.long 0xD1CB0008, 0x03CA1104
.long 0x0A101104
.long 0x0A1010FF, 0x40135761
.long 0x7E104108
.long 0xBF800000
.long 0x021010F2
.long 0x7E104508
.long 0xBF800000
.long 0xD1CB0008, 0x03D210F5
.long 0x0A101104
.long 0x0A0810F0
.long 0x0A100AFF, 0x3D372713
.long 0xD1CB0008, 0x03CA1105
.long 0x0A101105
.long 0x0A1010FF, 0x40135761
.long 0x7E104108
.long 0xBF800000
.long 0x021010F2
.long 0x7E104508
.long 0xBF800000
.long 0xD1CB0008, 0x03D210F5
	;; [unrolled: 12-line block ×4, first 2 shown]
.long 0x0A101107
.long 0x0A0E10F0
	;; [unrolled: 1-line block ×4, first 2 shown]
.long 0xD046006A, 0x00010104
.long 0x00080908
.long 0x0A100A3A
.long 0xD046006A, 0x00010105
.long 0x000A0B08
.long 0x0A100C3A
	;; [unrolled: 3-line block ×4, first 2 shown]
.long 0xD10B0004, 0x00010104
.long 0xD10B0005, 0x00010105
.long 0xD10B0006, 0x00010106
.long 0xD10B0007, 0x00010107
.long 0xBE801D48
.long 0x0A0808FF, 0xBFB8AA3B
.long 0x7E084104
.long 0xBF800000
.long 0x020808F2
.long 0x7E084504
.long 0xBF800000
.long 0x0A0A0AFF, 0xBFB8AA3B
.long 0x7E0A4105
.long 0xBF800000
.long 0x020A0AF2
.long 0x7E0A4505
	;; [unrolled: 6-line block ×4, first 2 shown]
.long 0xBF800000
.long 0xBE801D48
	;; [unrolled: 1-line block ×3, first 2 shown]
.long 0x0A0808FF, 0x4038AA3B
.long 0x7E084104
.long 0xBF800000
.long 0x020808F2
.long 0x7E084504
.long 0xBF800000
.long 0xD1CB0004, 0x03CA08F5
.long 0x0A08083B
.long 0x0A0A0A3A
.long 0x0A0A0AFF, 0x4038AA3B
.long 0x7E0A4105
.long 0xBF800000
.long 0x020A0AF2
.long 0x7E0A4505
.long 0xBF800000
.long 0xD1CB0005, 0x03CA0AF5
.long 0x0A0A0A3B
.long 0x0A0C0C3A
	;; [unrolled: 9-line block ×4, first 2 shown]
.long 0x0A1008FF, 0x3D372713
.long 0xD1CB0008, 0x03CA1104
.long 0x0A101104
.long 0x0A1010FF, 0x40135761
.long 0x7E104108
.long 0xBF800000
.long 0x021010F2
.long 0x7E104508
.long 0xBF800000
.long 0xD1CB0008, 0x03D210F5
.long 0x0A101104
.long 0x0A1010F0
.long 0x0A08103A
.long 0x0A100AFF, 0x3D372713
.long 0xD1CB0008, 0x03CA1105
.long 0x0A101105
.long 0x0A1010FF, 0x40135761
.long 0x7E104108
.long 0xBF800000
.long 0x021010F2
.long 0x7E104508
.long 0xBF800000
.long 0xD1CB0008, 0x03D210F5
.long 0x0A101105
.long 0x0A1010F0
.long 0x0A0A103A
	;; [unrolled: 13-line block ×4, first 2 shown]
.long 0xBE801D48
.long 0xBE801D48
.long 0x260808FF, 0x7FFFFFFF
.long 0xBE801D48
.long 0xD044006A, 0x00007504
.long 0x1408083B
.long 0x00080880
	;; [unrolled: 1-line block ×3, first 2 shown]
.long 0x0A1008FF, 0x3D372713
.long 0xD1CB0008, 0x03CA1104
.long 0x0A101104
.long 0x0A1010FF, 0x40135761
.long 0x7E104108
.long 0xBF800000
	;; [unrolled: 1-line block ×5, first 2 shown]
.long 0xD1CB0008, 0x03D210F5
.long 0x0A101104
.long 0x0A0810F0
	;; [unrolled: 1-line block ×4, first 2 shown]
.long 0xD046006A, 0x00010104
.long 0x00080908
.long 0xBE801D48
.long 0xD10B0004, 0x00010104
.long 0xBE801D48
.long 0x0A0808FF, 0xBFB8AA3B
.long 0x7E084104
.long 0xBF800000
	;; [unrolled: 1-line block ×7, first 2 shown]
.long 0x0A0808FF, 0x4038AA3B
.long 0x7E084104
.long 0xBF800000
	;; [unrolled: 1-line block ×5, first 2 shown]
.long 0xD1CB0004, 0x03CA08F5
.long 0x0A08083B
.long 0xBE801D48
.long 0x0A1008FF, 0x3D372713
.long 0xD1CB0008, 0x03CA1104
.long 0x0A101104
.long 0x0A1010FF, 0x40135761
.long 0x7E104108
.long 0xBF800000
.long 0x021010F2
.long 0x7E104508
.long 0xBF800000
.long 0xD1CB0008, 0x03D210F5
.long 0x0A101104
.long 0x0A1010F0
	;; [unrolled: 1-line block ×5, first 2 shown]
